;; amdgpu-corpus repo=ROCm/rocFFT kind=compiled arch=gfx1030 opt=O3
	.text
	.amdgcn_target "amdgcn-amd-amdhsa--gfx1030"
	.amdhsa_code_object_version 6
	.protected	fft_rtc_back_len2000_factors_5_5_5_16_wgs_125_tpt_125_halfLds_dp_ip_CI_unitstride_sbrr_dirReg ; -- Begin function fft_rtc_back_len2000_factors_5_5_5_16_wgs_125_tpt_125_halfLds_dp_ip_CI_unitstride_sbrr_dirReg
	.globl	fft_rtc_back_len2000_factors_5_5_5_16_wgs_125_tpt_125_halfLds_dp_ip_CI_unitstride_sbrr_dirReg
	.p2align	8
	.type	fft_rtc_back_len2000_factors_5_5_5_16_wgs_125_tpt_125_halfLds_dp_ip_CI_unitstride_sbrr_dirReg,@function
fft_rtc_back_len2000_factors_5_5_5_16_wgs_125_tpt_125_halfLds_dp_ip_CI_unitstride_sbrr_dirReg: ; @fft_rtc_back_len2000_factors_5_5_5_16_wgs_125_tpt_125_halfLds_dp_ip_CI_unitstride_sbrr_dirReg
; %bb.0:
	s_clause 0x2
	s_load_dwordx4 s[8:11], s[4:5], 0x0
	s_load_dwordx2 s[2:3], s[4:5], 0x50
	s_load_dwordx2 s[12:13], s[4:5], 0x18
	v_mul_u32_u24_e32 v1, 0x20d, v0
	v_mov_b32_e32 v3, 0
	v_add_nc_u32_sdwa v5, s6, v1 dst_sel:DWORD dst_unused:UNUSED_PAD src0_sel:DWORD src1_sel:WORD_1
	v_mov_b32_e32 v1, 0
	v_mov_b32_e32 v6, v3
	v_mov_b32_e32 v2, 0
	s_waitcnt lgkmcnt(0)
	v_cmp_lt_u64_e64 s0, s[10:11], 2
	s_and_b32 vcc_lo, exec_lo, s0
	s_cbranch_vccnz .LBB0_8
; %bb.1:
	s_load_dwordx2 s[0:1], s[4:5], 0x10
	v_mov_b32_e32 v1, 0
	s_add_u32 s6, s12, 8
	v_mov_b32_e32 v2, 0
	s_addc_u32 s7, s13, 0
	s_mov_b64 s[16:17], 1
	s_waitcnt lgkmcnt(0)
	s_add_u32 s14, s0, 8
	s_addc_u32 s15, s1, 0
.LBB0_2:                                ; =>This Inner Loop Header: Depth=1
	s_load_dwordx2 s[18:19], s[14:15], 0x0
                                        ; implicit-def: $vgpr7_vgpr8
	s_mov_b32 s0, exec_lo
	s_waitcnt lgkmcnt(0)
	v_or_b32_e32 v4, s19, v6
	v_cmpx_ne_u64_e32 0, v[3:4]
	s_xor_b32 s1, exec_lo, s0
	s_cbranch_execz .LBB0_4
; %bb.3:                                ;   in Loop: Header=BB0_2 Depth=1
	v_cvt_f32_u32_e32 v4, s18
	v_cvt_f32_u32_e32 v7, s19
	s_sub_u32 s0, 0, s18
	s_subb_u32 s20, 0, s19
	v_fmac_f32_e32 v4, 0x4f800000, v7
	v_rcp_f32_e32 v4, v4
	v_mul_f32_e32 v4, 0x5f7ffffc, v4
	v_mul_f32_e32 v7, 0x2f800000, v4
	v_trunc_f32_e32 v7, v7
	v_fmac_f32_e32 v4, 0xcf800000, v7
	v_cvt_u32_f32_e32 v7, v7
	v_cvt_u32_f32_e32 v4, v4
	v_mul_lo_u32 v8, s0, v7
	v_mul_hi_u32 v9, s0, v4
	v_mul_lo_u32 v10, s20, v4
	v_add_nc_u32_e32 v8, v9, v8
	v_mul_lo_u32 v9, s0, v4
	v_add_nc_u32_e32 v8, v8, v10
	v_mul_hi_u32 v10, v4, v9
	v_mul_lo_u32 v11, v4, v8
	v_mul_hi_u32 v12, v4, v8
	v_mul_hi_u32 v13, v7, v9
	v_mul_lo_u32 v9, v7, v9
	v_mul_hi_u32 v14, v7, v8
	v_mul_lo_u32 v8, v7, v8
	v_add_co_u32 v10, vcc_lo, v10, v11
	v_add_co_ci_u32_e32 v11, vcc_lo, 0, v12, vcc_lo
	v_add_co_u32 v9, vcc_lo, v10, v9
	v_add_co_ci_u32_e32 v9, vcc_lo, v11, v13, vcc_lo
	v_add_co_ci_u32_e32 v10, vcc_lo, 0, v14, vcc_lo
	v_add_co_u32 v8, vcc_lo, v9, v8
	v_add_co_ci_u32_e32 v9, vcc_lo, 0, v10, vcc_lo
	v_add_co_u32 v4, vcc_lo, v4, v8
	v_add_co_ci_u32_e32 v7, vcc_lo, v7, v9, vcc_lo
	v_mul_hi_u32 v8, s0, v4
	v_mul_lo_u32 v10, s20, v4
	v_mul_lo_u32 v9, s0, v7
	v_add_nc_u32_e32 v8, v8, v9
	v_mul_lo_u32 v9, s0, v4
	v_add_nc_u32_e32 v8, v8, v10
	v_mul_hi_u32 v10, v4, v9
	v_mul_lo_u32 v11, v4, v8
	v_mul_hi_u32 v12, v4, v8
	v_mul_hi_u32 v13, v7, v9
	v_mul_lo_u32 v9, v7, v9
	v_mul_hi_u32 v14, v7, v8
	v_mul_lo_u32 v8, v7, v8
	v_add_co_u32 v10, vcc_lo, v10, v11
	v_add_co_ci_u32_e32 v11, vcc_lo, 0, v12, vcc_lo
	v_add_co_u32 v9, vcc_lo, v10, v9
	v_add_co_ci_u32_e32 v9, vcc_lo, v11, v13, vcc_lo
	v_add_co_ci_u32_e32 v10, vcc_lo, 0, v14, vcc_lo
	v_add_co_u32 v8, vcc_lo, v9, v8
	v_add_co_ci_u32_e32 v9, vcc_lo, 0, v10, vcc_lo
	v_add_co_u32 v4, vcc_lo, v4, v8
	v_add_co_ci_u32_e32 v11, vcc_lo, v7, v9, vcc_lo
	v_mul_hi_u32 v13, v5, v4
	v_mad_u64_u32 v[9:10], null, v6, v4, 0
	v_mad_u64_u32 v[7:8], null, v5, v11, 0
	;; [unrolled: 1-line block ×3, first 2 shown]
	v_add_co_u32 v4, vcc_lo, v13, v7
	v_add_co_ci_u32_e32 v7, vcc_lo, 0, v8, vcc_lo
	v_add_co_u32 v4, vcc_lo, v4, v9
	v_add_co_ci_u32_e32 v4, vcc_lo, v7, v10, vcc_lo
	v_add_co_ci_u32_e32 v7, vcc_lo, 0, v12, vcc_lo
	v_add_co_u32 v4, vcc_lo, v4, v11
	v_add_co_ci_u32_e32 v9, vcc_lo, 0, v7, vcc_lo
	v_mul_lo_u32 v10, s19, v4
	v_mad_u64_u32 v[7:8], null, s18, v4, 0
	v_mul_lo_u32 v11, s18, v9
	v_sub_co_u32 v7, vcc_lo, v5, v7
	v_add3_u32 v8, v8, v11, v10
	v_sub_nc_u32_e32 v10, v6, v8
	v_subrev_co_ci_u32_e64 v10, s0, s19, v10, vcc_lo
	v_add_co_u32 v11, s0, v4, 2
	v_add_co_ci_u32_e64 v12, s0, 0, v9, s0
	v_sub_co_u32 v13, s0, v7, s18
	v_sub_co_ci_u32_e32 v8, vcc_lo, v6, v8, vcc_lo
	v_subrev_co_ci_u32_e64 v10, s0, 0, v10, s0
	v_cmp_le_u32_e32 vcc_lo, s18, v13
	v_cmp_eq_u32_e64 s0, s19, v8
	v_cndmask_b32_e64 v13, 0, -1, vcc_lo
	v_cmp_le_u32_e32 vcc_lo, s19, v10
	v_cndmask_b32_e64 v14, 0, -1, vcc_lo
	v_cmp_le_u32_e32 vcc_lo, s18, v7
	;; [unrolled: 2-line block ×3, first 2 shown]
	v_cndmask_b32_e64 v15, 0, -1, vcc_lo
	v_cmp_eq_u32_e32 vcc_lo, s19, v10
	v_cndmask_b32_e64 v7, v15, v7, s0
	v_cndmask_b32_e32 v10, v14, v13, vcc_lo
	v_add_co_u32 v13, vcc_lo, v4, 1
	v_add_co_ci_u32_e32 v14, vcc_lo, 0, v9, vcc_lo
	v_cmp_ne_u32_e32 vcc_lo, 0, v10
	v_cndmask_b32_e32 v8, v14, v12, vcc_lo
	v_cndmask_b32_e32 v10, v13, v11, vcc_lo
	v_cmp_ne_u32_e32 vcc_lo, 0, v7
	v_cndmask_b32_e32 v8, v9, v8, vcc_lo
	v_cndmask_b32_e32 v7, v4, v10, vcc_lo
.LBB0_4:                                ;   in Loop: Header=BB0_2 Depth=1
	s_andn2_saveexec_b32 s0, s1
	s_cbranch_execz .LBB0_6
; %bb.5:                                ;   in Loop: Header=BB0_2 Depth=1
	v_cvt_f32_u32_e32 v4, s18
	s_sub_i32 s1, 0, s18
	v_rcp_iflag_f32_e32 v4, v4
	v_mul_f32_e32 v4, 0x4f7ffffe, v4
	v_cvt_u32_f32_e32 v4, v4
	v_mul_lo_u32 v7, s1, v4
	v_mul_hi_u32 v7, v4, v7
	v_add_nc_u32_e32 v4, v4, v7
	v_mul_hi_u32 v4, v5, v4
	v_mul_lo_u32 v7, v4, s18
	v_add_nc_u32_e32 v8, 1, v4
	v_sub_nc_u32_e32 v7, v5, v7
	v_subrev_nc_u32_e32 v9, s18, v7
	v_cmp_le_u32_e32 vcc_lo, s18, v7
	v_cndmask_b32_e32 v7, v7, v9, vcc_lo
	v_cndmask_b32_e32 v4, v4, v8, vcc_lo
	v_cmp_le_u32_e32 vcc_lo, s18, v7
	v_add_nc_u32_e32 v8, 1, v4
	v_cndmask_b32_e32 v7, v4, v8, vcc_lo
	v_mov_b32_e32 v8, v3
.LBB0_6:                                ;   in Loop: Header=BB0_2 Depth=1
	s_or_b32 exec_lo, exec_lo, s0
	s_load_dwordx2 s[0:1], s[6:7], 0x0
	v_mul_lo_u32 v4, v8, s18
	v_mul_lo_u32 v11, v7, s19
	v_mad_u64_u32 v[9:10], null, v7, s18, 0
	s_add_u32 s16, s16, 1
	s_addc_u32 s17, s17, 0
	s_add_u32 s6, s6, 8
	s_addc_u32 s7, s7, 0
	;; [unrolled: 2-line block ×3, first 2 shown]
	v_add3_u32 v4, v10, v11, v4
	v_sub_co_u32 v5, vcc_lo, v5, v9
	v_sub_co_ci_u32_e32 v4, vcc_lo, v6, v4, vcc_lo
	s_waitcnt lgkmcnt(0)
	v_mul_lo_u32 v6, s1, v5
	v_mul_lo_u32 v4, s0, v4
	v_mad_u64_u32 v[1:2], null, s0, v5, v[1:2]
	v_cmp_ge_u64_e64 s0, s[16:17], s[10:11]
	s_and_b32 vcc_lo, exec_lo, s0
	v_add3_u32 v2, v6, v2, v4
	s_cbranch_vccnz .LBB0_9
; %bb.7:                                ;   in Loop: Header=BB0_2 Depth=1
	v_mov_b32_e32 v5, v7
	v_mov_b32_e32 v6, v8
	s_branch .LBB0_2
.LBB0_8:
	v_mov_b32_e32 v8, v6
	v_mov_b32_e32 v7, v5
.LBB0_9:
	s_lshl_b64 s[0:1], s[10:11], 3
	v_mul_hi_u32 v3, 0x20c49bb, v0
	s_add_u32 s0, s12, s0
	s_addc_u32 s1, s13, s1
	v_mov_b32_e32 v110, 0
	s_load_dwordx2 s[0:1], s[0:1], 0x0
	s_load_dwordx2 s[4:5], s[4:5], 0x20
                                        ; implicit-def: $vgpr54_vgpr55
                                        ; implicit-def: $vgpr10_vgpr11
                                        ; implicit-def: $vgpr58_vgpr59
                                        ; implicit-def: $vgpr46_vgpr47
                                        ; implicit-def: $vgpr78_vgpr79
                                        ; implicit-def: $vgpr38_vgpr39
                                        ; implicit-def: $vgpr34_vgpr35
                                        ; implicit-def: $vgpr70_vgpr71
                                        ; implicit-def: $vgpr74_vgpr75
                                        ; implicit-def: $vgpr62_vgpr63
                                        ; implicit-def: $vgpr50_vgpr51
                                        ; implicit-def: $vgpr42_vgpr43
                                        ; implicit-def: $vgpr82_vgpr83
                                        ; implicit-def: $vgpr86_vgpr87
                                        ; implicit-def: $vgpr94_vgpr95
                                        ; implicit-def: $vgpr90_vgpr91
                                        ; implicit-def: $vgpr98_vgpr99
                                        ; implicit-def: $vgpr14_vgpr15
                                        ; implicit-def: $vgpr66_vgpr67
                                        ; implicit-def: $vgpr102_vgpr103
	v_mul_u32_u24_e32 v3, 0x7d, v3
	v_sub_nc_u32_e32 v111, v0, v3
	s_waitcnt lgkmcnt(0)
	v_mul_lo_u32 v4, s0, v8
	v_mul_lo_u32 v5, s1, v7
	v_mad_u64_u32 v[1:2], null, s0, v7, v[1:2]
	v_cmp_gt_u64_e32 vcc_lo, s[4:5], v[7:8]
	v_add3_u32 v2, v5, v2, v4
	v_lshlrev_b64 v[108:109], 4, v[1:2]
	s_and_saveexec_b32 s1, vcc_lo
	s_cbranch_execz .LBB0_13
; %bb.10:
	v_mov_b32_e32 v112, 0
	v_add_co_u32 v2, s0, s2, v108
	v_add_co_ci_u32_e64 v3, s0, s3, v109, s0
	v_lshlrev_b64 v[0:1], 4, v[111:112]
	s_mov_b32 s4, exec_lo
                                        ; implicit-def: $vgpr96_vgpr97
                                        ; implicit-def: $vgpr88_vgpr89
                                        ; implicit-def: $vgpr92_vgpr93
                                        ; implicit-def: $vgpr84_vgpr85
                                        ; implicit-def: $vgpr80_vgpr81
	v_add_co_u32 v0, s0, v2, v0
	v_add_co_ci_u32_e64 v1, s0, v3, v1, s0
	v_add_co_u32 v4, s0, 0x1800, v0
	v_add_co_ci_u32_e64 v5, s0, 0, v1, s0
	;; [unrolled: 2-line block ×3, first 2 shown]
	s_clause 0x1
	global_load_dwordx4 v[52:55], v[4:5], off offset:256
	global_load_dwordx4 v[8:11], v[2:3], off offset:512
	v_add_co_u32 v4, s0, 0x4800, v0
	v_add_co_ci_u32_e64 v5, s0, 0, v1, s0
	v_add_co_u32 v12, s0, 0x2000, v0
	v_add_co_ci_u32_e64 v13, s0, 0, v1, s0
	;; [unrolled: 2-line block ×6, first 2 shown]
	s_clause 0x3
	global_load_dwordx4 v[64:67], v[12:13], off offset:208
	global_load_dwordx4 v[36:39], v[14:15], off offset:464
	;; [unrolled: 1-line block ×4, first 2 shown]
	v_add_co_u32 v16, s0, 0x800, v0
	v_add_co_ci_u32_e64 v17, s0, 0, v1, s0
	v_add_co_u32 v18, s0, 0x2800, v0
	v_add_co_ci_u32_e64 v19, s0, 0, v1, s0
	;; [unrolled: 2-line block ×5, first 2 shown]
	s_clause 0x8
	global_load_dwordx4 v[68:71], v[16:17], off offset:1952
	global_load_dwordx4 v[72:75], v[18:19], off offset:160
	global_load_dwordx4 v[60:63], v[20:21], off offset:416
	global_load_dwordx4 v[48:51], v[22:23], off offset:672
	global_load_dwordx4 v[40:43], v[24:25], off offset:928
	global_load_dwordx4 v[56:59], v[4:5], off offset:768
	global_load_dwordx4 v[44:47], v[6:7], off offset:1024
	global_load_dwordx4 v[100:103], v[0:1], off
	global_load_dwordx4 v[76:79], v[0:1], off offset:2000
	v_cmpx_gt_u32_e32 25, v111
; %bb.11:
	v_add_co_u32 v16, s0, 0x1000, v0
	v_add_co_ci_u32_e64 v17, s0, 0, v1, s0
	v_add_co_u32 v0, s0, 0x7800, v0
	v_add_co_ci_u32_e64 v1, s0, 0, v1, s0
	s_clause 0x4
	global_load_dwordx4 v[88:91], v[2:3], off offset:112
	global_load_dwordx4 v[92:95], v[4:5], off offset:368
	;; [unrolled: 1-line block ×5, first 2 shown]
; %bb.12:
	s_or_b32 exec_lo, exec_lo, s4
	v_mov_b32_e32 v110, v111
.LBB0_13:
	s_or_b32 exec_lo, exec_lo, s1
	s_waitcnt vmcnt(2)
	v_add_f64 v[0:1], v[52:53], v[44:45]
	v_add_f64 v[2:3], v[12:13], v[64:65]
	;; [unrolled: 1-line block ×3, first 2 shown]
	v_add_f64 v[16:17], v[52:53], -v[8:9]
	v_add_f64 v[18:19], v[44:45], -v[56:57]
	;; [unrolled: 1-line block ×3, first 2 shown]
	v_add_f64 v[30:31], v[36:37], v[32:33]
	v_add_f64 v[104:105], v[60:61], v[48:49]
	v_add_f64 v[106:107], v[38:39], -v[34:35]
	v_add_f64 v[114:115], v[72:73], v[40:41]
	s_waitcnt vmcnt(1)
	v_add_f64 v[128:129], v[84:85], v[92:93]
	s_waitcnt vmcnt(0)
	v_add_f64 v[136:137], v[80:81], v[88:89]
	s_mov_b32 s6, 0x134454ff
	s_mov_b32 s7, 0xbfee6f0e
	;; [unrolled: 1-line block ×4, first 2 shown]
	v_add_f64 v[4:5], v[52:53], v[100:101]
	v_add_f64 v[20:21], v[54:55], -v[46:47]
	v_add_f64 v[24:25], v[8:9], -v[52:53]
	;; [unrolled: 1-line block ×5, first 2 shown]
	v_fma_f64 v[0:1], v[0:1], -0.5, v[100:101]
	v_fma_f64 v[2:3], v[2:3], -0.5, v[76:77]
	v_add_f64 v[116:117], v[76:77], v[64:65]
	v_add_f64 v[118:119], v[66:67], -v[14:15]
	v_add_f64 v[120:121], v[36:37], -v[64:65]
	;; [unrolled: 1-line block ×5, first 2 shown]
	v_add_f64 v[130:131], v[68:69], v[72:73]
	v_add_f64 v[132:133], v[74:75], -v[42:43]
	v_add_f64 v[134:135], v[62:63], -v[50:51]
	v_fma_f64 v[6:7], v[6:7], -0.5, v[100:101]
	v_fma_f64 v[30:31], v[30:31], -0.5, v[76:77]
	;; [unrolled: 1-line block ×4, first 2 shown]
	v_add_f64 v[114:115], v[90:91], -v[82:83]
	v_add_f64 v[142:143], v[94:95], -v[86:87]
	v_add_f64 v[144:145], v[88:89], v[96:97]
	v_add_f64 v[16:17], v[16:17], v[18:19]
	v_fma_f64 v[18:19], v[128:129], -0.5, v[96:97]
	v_fma_f64 v[96:97], v[136:137], -0.5, v[96:97]
	s_mov_b32 s0, 0x4755a5e
	v_fma_f64 v[100:101], v[22:23], s[10:11], v[0:1]
	v_fma_f64 v[0:1], v[22:23], s[6:7], v[0:1]
	;; [unrolled: 1-line block ×4, first 2 shown]
	s_mov_b32 s1, 0xbfe2cf23
	s_mov_b32 s5, 0x3fe2cf23
	;; [unrolled: 1-line block ×3, first 2 shown]
	v_add_f64 v[138:139], v[60:61], -v[72:73]
	v_add_f64 v[140:141], v[48:49], -v[40:41]
	v_add_f64 v[4:5], v[8:9], v[4:5]
	v_add_f64 v[24:25], v[24:25], v[26:27]
	;; [unrolled: 1-line block ×7, first 2 shown]
	v_fma_f64 v[122:123], v[20:21], s[6:7], v[6:7]
	v_fma_f64 v[124:125], v[118:119], s[6:7], v[30:31]
	;; [unrolled: 1-line block ×10, first 2 shown]
	v_add_f64 v[20:21], v[88:89], -v[92:93]
	v_add_f64 v[130:131], v[80:81], -v[84:85]
	v_fma_f64 v[30:31], v[118:119], s[10:11], v[30:31]
	v_fma_f64 v[76:77], v[132:133], s[10:11], v[76:77]
	;; [unrolled: 1-line block ×4, first 2 shown]
	v_add_f64 v[136:137], v[92:93], -v[88:89]
	v_add_f64 v[146:147], v[84:85], -v[80:81]
	v_fma_f64 v[148:149], v[142:143], s[10:11], v[96:97]
	v_fma_f64 v[96:97], v[142:143], s[6:7], v[96:97]
	v_add_f64 v[144:145], v[92:93], v[144:145]
	v_add_f64 v[4:5], v[56:57], v[4:5]
	v_fma_f64 v[122:123], v[22:23], s[0:1], v[122:123]
	v_add_f64 v[28:29], v[32:33], v[28:29]
	v_fma_f64 v[124:125], v[106:107], s[0:1], v[124:125]
	;; [unrolled: 2-line block ×4, first 2 shown]
	v_fma_f64 v[68:69], v[132:133], s[4:5], v[68:69]
	v_fma_f64 v[6:7], v[22:23], s[4:5], v[6:7]
	v_add_f64 v[20:21], v[130:131], v[20:21]
	v_fma_f64 v[22:23], v[106:107], s[4:5], v[30:31]
	v_fma_f64 v[30:31], v[134:135], s[4:5], v[76:77]
	;; [unrolled: 1-line block ×4, first 2 shown]
	v_add_f64 v[106:107], v[146:147], v[136:137]
	v_fma_f64 v[118:119], v[114:115], s[0:1], v[148:149]
	v_fma_f64 v[96:97], v[114:115], s[4:5], v[96:97]
	v_add_f64 v[114:115], v[84:85], v[144:145]
	s_mov_b32 s0, 0x372fe950
	s_mov_b32 s1, 0x3fd3c6ef
	v_add_f64 v[4:5], v[44:45], v[4:5]
	v_fma_f64 v[130:131], v[16:17], s[0:1], v[122:123]
	v_fma_f64 v[132:133], v[24:25], s[0:1], v[100:101]
	v_fma_f64 v[0:1], v[24:25], s[0:1], v[0:1]
	v_add_f64 v[24:25], v[12:13], v[28:29]
	v_fma_f64 v[28:29], v[26:27], s[0:1], v[124:125]
	v_fma_f64 v[104:105], v[112:113], s[0:1], v[104:105]
	v_fma_f64 v[2:3], v[112:113], s[0:1], v[2:3]
	;; [unrolled: 4-line block ×3, first 2 shown]
	v_fma_f64 v[6:7], v[16:17], s[0:1], v[6:7]
	v_fma_f64 v[112:113], v[20:21], s[0:1], v[76:77]
	;; [unrolled: 1-line block ×7, first 2 shown]
	v_add_f64 v[68:69], v[80:81], v[114:115]
	v_mad_u32_u24 v117, v111, 40, 0
	v_cmp_gt_u32_e64 s0, 25, v111
	v_add_nc_u32_e32 v123, 0x1388, v117
	v_add_nc_u32_e32 v122, 0x1398, v117
	;; [unrolled: 1-line block ×6, first 2 shown]
	ds_write2_b64 v117, v[4:5], v[130:131] offset1:1
	ds_write2_b64 v117, v[132:133], v[0:1] offset0:2 offset1:3
	ds_write2_b64 v123, v[24:25], v[28:29] offset1:1
	ds_write2_b64 v122, v[104:105], v[2:3] offset1:1
	;; [unrolled: 1-line block ×4, first 2 shown]
	ds_write_b64 v117, v[6:7] offset:32
	ds_write_b64 v117, v[16:17] offset:5032
	;; [unrolled: 1-line block ×3, first 2 shown]
	s_and_saveexec_b32 s1, s0
	s_cbranch_execz .LBB0_15
; %bb.14:
	ds_write2_b64 v119, v[68:69], v[112:113] offset1:1
	ds_write2_b64 v118, v[100:101], v[96:97] offset1:1
	ds_write_b64 v117, v[76:77] offset:15032
.LBB0_15:
	s_or_b32 exec_lo, exec_lo, s1
	v_lshlrev_b32_e32 v0, 5, v111
	s_waitcnt lgkmcnt(0)
	s_barrier
	buffer_gl0_inv
	v_sub_nc_u32_e32 v116, v117, v0
	v_add_nc_u32_e32 v4, 0x600, v116
	v_add_nc_u32_e32 v16, 0x1800, v116
	;; [unrolled: 1-line block ×6, first 2 shown]
	ds_read2_b64 v[0:3], v116 offset1:125
	ds_read2_b64 v[4:7], v4 offset0:58 offset1:208
	ds_read2_b64 v[16:19], v16 offset0:32 offset1:157
	;; [unrolled: 1-line block ×6, first 2 shown]
	ds_read_b64 v[114:115], v116 offset:14800
	s_and_saveexec_b32 s1, s0
	s_cbranch_execz .LBB0_17
; %bb.16:
	ds_read_b64 v[68:69], v116 offset:3000
	ds_read_b64 v[112:113], v116 offset:6200
	;; [unrolled: 1-line block ×5, first 2 shown]
.LBB0_17:
	s_or_b32 exec_lo, exec_lo, s1
	v_add_f64 v[124:125], v[10:11], v[58:59]
	v_add_f64 v[126:127], v[54:55], v[46:47]
	;; [unrolled: 1-line block ×3, first 2 shown]
	v_add_f64 v[44:45], v[52:53], -v[44:45]
	v_add_f64 v[8:9], v[8:9], -v[56:57]
	;; [unrolled: 1-line block ×4, first 2 shown]
	v_add_f64 v[130:131], v[38:39], v[34:35]
	v_add_f64 v[132:133], v[14:15], v[66:67]
	;; [unrolled: 1-line block ×4, first 2 shown]
	v_add_f64 v[12:13], v[64:65], -v[12:13]
	v_add_f64 v[146:147], v[82:83], v[90:91]
	s_mov_b32 s10, 0x134454ff
	s_mov_b32 s11, 0x3fee6f0e
	;; [unrolled: 1-line block ×4, first 2 shown]
	v_add_f64 v[54:55], v[10:11], -v[54:55]
	v_add_f64 v[134:135], v[58:59], -v[46:47]
	v_add_f64 v[138:139], v[78:79], v[66:67]
	v_add_f64 v[32:33], v[36:37], -v[32:33]
	v_add_f64 v[144:145], v[70:71], v[74:75]
	v_fma_f64 v[124:125], v[124:125], -0.5, v[102:103]
	v_fma_f64 v[64:65], v[126:127], -0.5, v[102:103]
	v_add_f64 v[126:127], v[86:87], v[94:95]
	v_add_f64 v[40:41], v[72:73], -v[40:41]
	v_add_f64 v[48:49], v[60:61], -v[48:49]
	v_add_f64 v[10:11], v[10:11], v[128:129]
	v_add_f64 v[80:81], v[88:89], -v[80:81]
	v_fma_f64 v[72:73], v[130:131], -0.5, v[78:79]
	v_fma_f64 v[78:79], v[132:133], -0.5, v[78:79]
	;; [unrolled: 1-line block ×4, first 2 shown]
	v_add_f64 v[140:141], v[90:91], v[98:99]
	v_add_f64 v[84:85], v[92:93], -v[84:85]
	v_add_f64 v[52:53], v[52:53], v[56:57]
	v_fma_f64 v[56:57], v[146:147], -0.5, v[98:99]
	s_mov_b32 s4, 0x4755a5e
	s_mov_b32 s5, 0x3fe2cf23
	;; [unrolled: 1-line block ×4, first 2 shown]
	v_add_f64 v[36:37], v[66:67], -v[38:39]
	v_add_f64 v[102:103], v[14:15], -v[34:35]
	;; [unrolled: 1-line block ×3, first 2 shown]
	v_fma_f64 v[132:133], v[44:45], s[10:11], v[124:125]
	v_fma_f64 v[124:125], v[44:45], s[12:13], v[124:125]
	;; [unrolled: 1-line block ×3, first 2 shown]
	v_fma_f64 v[88:89], v[126:127], -0.5, v[98:99]
	v_add_f64 v[142:143], v[34:35], -v[14:15]
	v_add_f64 v[60:61], v[74:75], -v[62:63]
	;; [unrolled: 1-line block ×4, first 2 shown]
	v_add_f64 v[54:55], v[54:55], v[134:135]
	v_add_f64 v[38:39], v[38:39], v[138:139]
	;; [unrolled: 1-line block ×4, first 2 shown]
	v_fma_f64 v[58:59], v[8:9], s[10:11], v[64:65]
	v_fma_f64 v[64:65], v[12:13], s[10:11], v[72:73]
	;; [unrolled: 1-line block ×8, first 2 shown]
	v_add_f64 v[134:135], v[50:51], -v[42:43]
	v_fma_f64 v[70:71], v[48:49], s[10:11], v[70:71]
	v_fma_f64 v[132:133], v[8:9], s[4:5], v[132:133]
	;; [unrolled: 1-line block ×4, first 2 shown]
	v_add_f64 v[136:137], v[94:95], v[140:141]
	v_fma_f64 v[138:139], v[80:81], s[10:11], v[88:89]
	v_add_f64 v[140:141], v[90:91], -v[94:95]
	v_add_f64 v[144:145], v[82:83], -v[86:87]
	v_fma_f64 v[88:89], v[80:81], s[12:13], v[88:89]
	v_fma_f64 v[146:147], v[84:85], s[12:13], v[56:57]
	v_add_f64 v[90:91], v[94:95], -v[90:91]
	v_add_f64 v[94:95], v[86:87], -v[82:83]
	v_fma_f64 v[56:57], v[84:85], s[10:11], v[56:57]
	v_fma_f64 v[44:45], v[44:45], s[6:7], v[58:59]
	v_add_f64 v[34:35], v[34:35], v[38:39]
	v_fma_f64 v[38:39], v[32:33], s[4:5], v[64:65]
	v_add_f64 v[36:37], v[102:103], v[36:37]
	v_fma_f64 v[32:33], v[32:33], s[6:7], v[72:73]
	v_fma_f64 v[58:59], v[12:13], s[4:5], v[92:93]
	v_add_f64 v[64:65], v[142:143], v[66:67]
	v_fma_f64 v[12:13], v[12:13], s[6:7], v[78:79]
	v_add_f64 v[50:51], v[62:63], v[50:51]
	v_fma_f64 v[62:63], v[48:49], s[4:5], v[98:99]
	v_add_f64 v[60:61], v[60:61], v[128:129]
	v_fma_f64 v[48:49], v[48:49], s[6:7], v[126:127]
	v_fma_f64 v[66:67], v[40:41], s[4:5], v[130:131]
	v_add_f64 v[72:73], v[74:75], v[134:135]
	;; [unrolled: 7-line block ×3, first 2 shown]
	v_fma_f64 v[56:57], v[80:81], s[6:7], v[56:57]
	s_mov_b32 s4, 0x372fe950
	s_mov_b32 s5, 0x3fd3c6ef
	v_add_f64 v[10:11], v[46:47], v[10:11]
	v_fma_f64 v[46:47], v[52:53], s[4:5], v[132:133]
	v_fma_f64 v[8:9], v[52:53], s[4:5], v[8:9]
	;; [unrolled: 1-line block ×4, first 2 shown]
	v_add_f64 v[14:15], v[14:15], v[34:35]
	v_fma_f64 v[34:35], v[36:37], s[4:5], v[38:39]
	v_fma_f64 v[32:33], v[36:37], s[4:5], v[32:33]
	;; [unrolled: 1-line block ×4, first 2 shown]
	v_add_f64 v[38:39], v[50:51], v[42:43]
	v_fma_f64 v[42:43], v[60:61], s[4:5], v[62:63]
	v_fma_f64 v[48:49], v[60:61], s[4:5], v[48:49]
	v_add_f64 v[52:53], v[82:83], v[70:71]
	v_fma_f64 v[50:51], v[72:73], s[4:5], v[66:67]
	v_fma_f64 v[60:61], v[78:79], s[4:5], v[74:75]
	;; [unrolled: 1-line block ×6, first 2 shown]
	s_waitcnt lgkmcnt(0)
	s_barrier
	buffer_gl0_inv
	ds_write2_b64 v117, v[10:11], v[46:47] offset1:1
	ds_write2_b64 v117, v[80:81], v[44:45] offset0:2 offset1:3
	ds_write_b64 v117, v[8:9] offset:32
	ds_write2_b64 v123, v[14:15], v[34:35] offset1:1
	ds_write2_b64 v122, v[36:37], v[12:13] offset1:1
	ds_write_b64 v117, v[32:33] offset:5032
	ds_write2_b64 v121, v[38:39], v[42:43] offset1:1
	ds_write2_b64 v120, v[50:51], v[40:41] offset1:1
	ds_write_b64 v117, v[48:49] offset:10032
	s_and_saveexec_b32 s1, s0
	s_cbranch_execz .LBB0_19
; %bb.18:
	ds_write2_b64 v119, v[52:53], v[60:61] offset1:1
	ds_write2_b64 v118, v[62:63], v[64:65] offset1:1
	ds_write_b64 v117, v[54:55] offset:15032
.LBB0_19:
	s_or_b32 exec_lo, exec_lo, s1
	v_add_nc_u32_e32 v32, 0x1800, v116
	v_add_nc_u32_e32 v8, 0x600, v116
	v_add_nc_u32_e32 v36, 0x2000, v116
	v_add_nc_u32_e32 v37, 0x3000, v116
	v_add_nc_u32_e32 v40, 0x1000, v116
	v_add_nc_u32_e32 v41, 0x2800, v116
	s_waitcnt lgkmcnt(0)
	s_barrier
	buffer_gl0_inv
	ds_read2_b64 v[12:15], v116 offset1:125
	ds_read2_b64 v[8:11], v8 offset0:58 offset1:208
	ds_read2_b64 v[32:35], v32 offset0:32 offset1:157
	;; [unrolled: 1-line block ×6, first 2 shown]
	ds_read_b64 v[70:71], v116 offset:14800
	s_and_saveexec_b32 s1, s0
	s_cbranch_execz .LBB0_21
; %bb.20:
	ds_read_b64 v[52:53], v116 offset:3000
	ds_read_b64 v[60:61], v116 offset:6200
	;; [unrolled: 1-line block ×5, first 2 shown]
.LBB0_21:
	s_or_b32 exec_lo, exec_lo, s1
	v_and_b32_e32 v118, 0xff, v111
	v_mov_b32_e32 v73, 6
	v_add_nc_u32_e32 v120, 0xfa, v111
	v_mov_b32_e32 v67, 0xcccd
	v_add_nc_u32_e32 v119, 0x177, v111
	v_mul_lo_u16 v56, 0xcd, v118
	v_add_nc_u16 v121, v111, 0x7d
	s_mov_b32 s10, 0x134454ff
	v_mul_u32_u24_sdwa v74, v120, v67 dst_sel:DWORD dst_unused:UNUSED_PAD src0_sel:WORD_0 src1_sel:DWORD
	v_mul_u32_u24_sdwa v67, v119, v67 dst_sel:DWORD dst_unused:UNUSED_PAD src0_sel:WORD_0 src1_sel:DWORD
	v_lshrrev_b16 v72, 10, v56
	v_and_b32_e32 v122, 0xff, v121
	s_mov_b32 s11, 0xbfee6f0e
	v_lshrrev_b32_e32 v124, 18, v74
	v_lshrrev_b32_e32 v126, 18, v67
	v_mul_lo_u16 v56, v72, 5
	s_mov_b32 s13, 0x3fee6f0e
	s_mov_b32 s12, s10
	v_mul_lo_u16 v74, v124, 5
	v_mul_lo_u16 v67, v126, 5
	v_sub_nc_u16 v117, v111, v56
	s_mov_b32 s4, 0x4755a5e
	s_mov_b32 s5, 0xbfe2cf23
	v_sub_nc_u16 v125, v120, v74
	v_sub_nc_u16 v123, v119, v67
	v_lshlrev_b32_sdwa v66, v73, v117 dst_sel:DWORD dst_unused:UNUSED_PAD src0_sel:DWORD src1_sel:BYTE_0
	v_mul_lo_u16 v67, 0xcd, v122
	s_mov_b32 s7, 0x3fe2cf23
	v_lshlrev_b32_sdwa v74, v73, v125 dst_sel:DWORD dst_unused:UNUSED_PAD src0_sel:DWORD src1_sel:WORD_0
	v_lshlrev_b32_sdwa v75, v73, v123 dst_sel:DWORD dst_unused:UNUSED_PAD src0_sel:DWORD src1_sel:WORD_0
	s_clause 0x1
	global_load_dwordx4 v[56:59], v66, s[8:9] offset:32
	global_load_dwordx4 v[137:140], v66, s[8:9]
	v_lshrrev_b16 v127, 10, v67
	s_clause 0x6
	global_load_dwordx4 v[78:81], v74, s[8:9] offset:16
	global_load_dwordx4 v[86:89], v74, s[8:9] offset:48
	global_load_dwordx4 v[90:93], v75, s[8:9]
	global_load_dwordx4 v[129:132], v75, s[8:9] offset:16
	global_load_dwordx4 v[133:136], v75, s[8:9] offset:32
	;; [unrolled: 1-line block ×4, first 2 shown]
	v_mul_lo_u16 v82, v127, 5
	s_clause 0x1
	global_load_dwordx4 v[149:152], v74, s[8:9]
	global_load_dwordx4 v[153:156], v74, s[8:9] offset:32
	s_mov_b32 s6, s4
	s_mov_b32 s14, 0x372fe950
	;; [unrolled: 1-line block ×3, first 2 shown]
	v_sub_nc_u16 v128, v121, v82
	v_lshlrev_b32_sdwa v73, v73, v128 dst_sel:DWORD dst_unused:UNUSED_PAD src0_sel:DWORD src1_sel:BYTE_0
	s_clause 0x4
	global_load_dwordx4 v[157:160], v75, s[8:9] offset:48
	global_load_dwordx4 v[161:164], v73, s[8:9]
	global_load_dwordx4 v[165:168], v73, s[8:9] offset:16
	global_load_dwordx4 v[169:172], v73, s[8:9] offset:32
	;; [unrolled: 1-line block ×3, first 2 shown]
	s_waitcnt vmcnt(0) lgkmcnt(0)
	s_barrier
	buffer_gl0_inv
	v_mul_f64 v[66:67], v[50:51], v[58:59]
	v_mul_f64 v[58:59], v[106:107], v[58:59]
	;; [unrolled: 1-line block ×7, first 2 shown]
	v_fma_f64 v[84:85], v[106:107], v[56:57], v[66:67]
	v_fma_f64 v[50:51], v[50:51], v[56:57], -v[58:59]
	v_mul_f64 v[56:57], v[48:49], v[80:81]
	v_mul_f64 v[66:67], v[70:71], v[88:89]
	;; [unrolled: 1-line block ×3, first 2 shown]
	v_fma_f64 v[94:95], v[6:7], v[137:138], v[94:95]
	v_fma_f64 v[58:59], v[104:105], v[78:79], v[56:57]
	v_mul_f64 v[56:57], v[104:105], v[80:81]
	v_mul_f64 v[80:81], v[112:113], v[92:93]
	;; [unrolled: 1-line block ×3, first 2 shown]
	v_fma_f64 v[66:67], v[114:115], v[86:87], v[66:67]
	v_mul_f64 v[104:105], v[46:47], v[151:152]
	v_fma_f64 v[56:57], v[48:49], v[78:79], -v[56:57]
	v_mul_f64 v[48:49], v[114:115], v[88:89]
	v_mul_f64 v[88:89], v[100:101], v[131:132]
	v_fma_f64 v[78:79], v[112:113], v[90:91], v[73:74]
	v_mul_f64 v[73:74], v[6:7], v[139:140]
	v_fma_f64 v[60:61], v[60:61], v[90:91], -v[80:81]
	v_mul_f64 v[90:91], v[32:33], v[143:144]
	v_fma_f64 v[80:81], v[100:101], v[129:130], v[82:83]
	v_mul_f64 v[100:101], v[20:21], v[147:148]
	v_mul_f64 v[112:113], v[42:43], v[155:156]
	v_fma_f64 v[82:83], v[64:65], v[133:134], -v[92:93]
	v_mul_f64 v[114:115], v[44:45], v[163:164]
	v_mul_f64 v[6:7], v[28:29], v[163:164]
	v_mul_f64 v[131:132], v[24:25], v[171:172]
	v_fma_f64 v[48:49], v[70:71], v[86:87], -v[48:49]
	v_mul_f64 v[70:71], v[64:65], v[135:136]
	v_fma_f64 v[62:63], v[62:63], v[129:130], -v[88:89]
	v_mul_f64 v[64:65], v[54:55], v[159:160]
	;; [unrolled: 2-line block ×4, first 2 shown]
	v_mul_f64 v[129:130], v[76:77], v[159:160]
	v_fma_f64 v[98:99], v[20:21], v[145:146], v[102:103]
	v_fma_f64 v[10:11], v[36:37], v[145:146], -v[100:101]
	v_mul_f64 v[20:21], v[18:19], v[167:168]
	v_fma_f64 v[36:37], v[46:47], v[149:150], -v[106:107]
	v_fma_f64 v[46:47], v[26:27], v[153:154], v[112:113]
	v_fma_f64 v[106:107], v[28:29], v[161:162], v[114:115]
	v_add_f64 v[143:144], v[68:69], v[78:79]
	v_add_f64 v[145:146], v[78:79], -v[80:81]
	v_fma_f64 v[86:87], v[96:97], v[133:134], v[70:71]
	v_fma_f64 v[96:97], v[16:17], v[141:142], v[90:91]
	v_mul_f64 v[16:17], v[40:41], v[171:172]
	v_mul_f64 v[70:71], v[26:27], v[155:156]
	v_fma_f64 v[90:91], v[30:31], v[149:150], v[104:105]
	v_mul_f64 v[30:31], v[22:23], v[175:176]
	v_fma_f64 v[102:103], v[76:77], v[157:158], v[64:65]
	v_fma_f64 v[104:105], v[18:19], v[165:166], v[73:74]
	;; [unrolled: 1-line block ×3, first 2 shown]
	v_fma_f64 v[40:41], v[40:41], v[169:170], -v[131:132]
	v_add_f64 v[22:23], v[94:95], v[98:99]
	v_add_f64 v[26:27], v[98:99], -v[84:85]
	v_add_f64 v[133:134], v[66:67], -v[46:47]
	v_add_f64 v[18:19], v[92:93], -v[10:11]
	v_add_f64 v[137:138], v[46:47], -v[66:67]
	v_add_f64 v[149:150], v[80:81], -v[78:79]
	v_mov_b32_e32 v77, 0xc8
	v_add_f64 v[139:140], v[80:81], v[86:87]
	v_add_f64 v[28:29], v[96:97], -v[94:95]
	v_fma_f64 v[112:113], v[24:25], v[169:170], v[16:17]
	v_fma_f64 v[100:101], v[42:43], v[153:154], -v[70:71]
	v_fma_f64 v[42:43], v[54:55], v[157:158], -v[129:130]
	;; [unrolled: 1-line block ×5, first 2 shown]
	v_add_f64 v[16:17], v[96:97], v[84:85]
	v_add_f64 v[24:25], v[94:95], -v[96:97]
	v_add_f64 v[30:31], v[58:59], v[46:47]
	v_add_f64 v[32:33], v[90:91], v[66:67]
	v_add_f64 v[34:35], v[84:85], -v[98:99]
	v_add_f64 v[75:76], v[90:91], -v[58:59]
	v_add_f64 v[131:132], v[106:107], v[114:115]
	v_add_f64 v[141:142], v[78:79], v[102:103]
	;; [unrolled: 1-line block ×3, first 2 shown]
	v_add_f64 v[20:21], v[88:89], -v[50:51]
	v_add_f64 v[64:65], v[4:5], v[90:91]
	v_add_f64 v[70:71], v[36:37], -v[48:49]
	v_add_f64 v[135:136], v[58:59], -v[90:91]
	;; [unrolled: 1-line block ×4, first 2 shown]
	v_add_f64 v[153:154], v[2:3], v[106:107]
	v_add_f64 v[129:130], v[104:105], v[112:113]
	v_add_f64 v[73:74], v[56:57], -v[100:101]
	v_add_f64 v[155:156], v[106:107], -v[104:105]
	;; [unrolled: 1-line block ×5, first 2 shown]
	v_fma_f64 v[16:17], v[16:17], -0.5, v[0:1]
	v_fma_f64 v[0:1], v[22:23], -0.5, v[0:1]
	;; [unrolled: 1-line block ×4, first 2 shown]
	v_add_f64 v[32:33], v[112:113], -v[114:115]
	v_add_f64 v[24:25], v[24:25], v[26:27]
	v_add_f64 v[26:27], v[44:45], -v[40:41]
	v_add_f64 v[28:29], v[28:29], v[34:35]
	v_add_f64 v[34:35], v[75:76], v[133:134]
	v_fma_f64 v[75:76], v[139:140], -0.5, v[68:69]
	v_fma_f64 v[68:69], v[141:142], -0.5, v[68:69]
	v_add_f64 v[6:7], v[6:7], v[96:97]
	v_add_f64 v[133:134], v[135:136], v[137:138]
	;; [unrolled: 1-line block ×5, first 2 shown]
	v_fma_f64 v[22:23], v[129:130], -0.5, v[2:3]
	v_fma_f64 v[2:3], v[131:132], -0.5, v[2:3]
	v_add_f64 v[129:130], v[62:63], -v[82:83]
	v_add_f64 v[131:132], v[54:55], -v[38:39]
	v_add_f64 v[139:140], v[143:144], v[80:81]
	v_add_f64 v[141:142], v[153:154], v[104:105]
	;; [unrolled: 1-line block ×3, first 2 shown]
	v_fma_f64 v[145:146], v[18:19], s[10:11], v[16:17]
	v_fma_f64 v[16:17], v[18:19], s[12:13], v[16:17]
	;; [unrolled: 1-line block ×3, first 2 shown]
	v_add_f64 v[32:33], v[159:160], v[32:33]
	v_fma_f64 v[0:1], v[20:21], s[10:11], v[0:1]
	v_fma_f64 v[149:150], v[70:71], s[10:11], v[30:31]
	v_fma_f64 v[30:31], v[70:71], s[12:13], v[30:31]
	v_fma_f64 v[151:152], v[73:74], s[12:13], v[4:5]
	v_fma_f64 v[4:5], v[73:74], s[10:11], v[4:5]
	v_fma_f64 v[157:158], v[161:162], s[10:11], v[75:76]
	v_fma_f64 v[75:76], v[161:162], s[12:13], v[75:76]
	v_add_f64 v[6:7], v[6:7], v[84:85]
	v_add_f64 v[64:65], v[64:65], v[46:47]
	v_fma_f64 v[155:156], v[26:27], s[12:13], v[2:3]
	v_fma_f64 v[2:3], v[26:27], s[10:11], v[2:3]
	;; [unrolled: 1-line block ×6, first 2 shown]
	v_add_f64 v[139:140], v[139:140], v[86:87]
	v_add_f64 v[141:142], v[141:142], v[112:113]
	v_fma_f64 v[145:146], v[20:21], s[4:5], v[145:146]
	v_fma_f64 v[16:17], v[20:21], s[6:7], v[16:17]
	;; [unrolled: 1-line block ×9, first 2 shown]
	v_add_f64 v[6:7], v[6:7], v[98:99]
	v_mov_b32_e32 v0, 3
	v_add_f64 v[151:152], v[64:65], v[66:67]
	v_fma_f64 v[149:150], v[131:132], s[4:5], v[155:156]
	v_fma_f64 v[1:2], v[131:132], s[6:7], v[2:3]
	;; [unrolled: 1-line block ×7, first 2 shown]
	v_mul_u32_u24_sdwa v153, v72, v77 dst_sel:DWORD dst_unused:UNUSED_PAD src0_sel:WORD_0 src1_sel:DWORD
	v_add_f64 v[64:65], v[139:140], v[102:103]
	v_add_f64 v[139:140], v[141:142], v[114:115]
	v_fma_f64 v[141:142], v[24:25], s[14:15], v[145:146]
	v_fma_f64 v[16:17], v[24:25], s[14:15], v[16:17]
	;; [unrolled: 1-line block ×9, first 2 shown]
	v_mul_u32_u24_e32 v5, 0xc8, v124
	v_mul_lo_u16 v124, v126, 25
	v_fma_f64 v[133:134], v[32:33], s[14:15], v[149:150]
	v_fma_f64 v[1:2], v[32:33], s[14:15], v[1:2]
	;; [unrolled: 1-line block ×7, first 2 shown]
	v_lshlrev_b32_sdwa v26, v0, v117 dst_sel:DWORD dst_unused:UNUSED_PAD src0_sel:DWORD src1_sel:BYTE_0
	v_lshlrev_b32_sdwa v27, v0, v125 dst_sel:DWORD dst_unused:UNUSED_PAD src0_sel:DWORD src1_sel:WORD_0
	v_mul_u32_u24_sdwa v32, v127, v77 dst_sel:DWORD dst_unused:UNUSED_PAD src0_sel:WORD_0 src1_sel:DWORD
	v_lshlrev_b32_sdwa v33, v0, v128 dst_sel:DWORD dst_unused:UNUSED_PAD src0_sel:DWORD src1_sel:BYTE_0
	v_add3_u32 v126, 0, v153, v26
	v_add3_u32 v125, 0, v5, v27
	;; [unrolled: 1-line block ×3, first 2 shown]
	ds_write2_b64 v126, v[6:7], v[141:142] offset1:5
	ds_write2_b64 v126, v[20:21], v[18:19] offset0:10 offset1:15
	ds_write_b64 v126, v[16:17] offset:160
	ds_write2_b64 v127, v[139:140], v[34:35] offset1:5
	ds_write2_b64 v127, v[133:134], v[1:2] offset0:10 offset1:15
	ds_write_b64 v127, v[22:23] offset:160
	;; [unrolled: 3-line block ×3, first 2 shown]
	s_and_saveexec_b32 s1, s0
	s_cbranch_execz .LBB0_23
; %bb.22:
	v_lshlrev_b32_sdwa v1, v0, v123 dst_sel:DWORD dst_unused:UNUSED_PAD src0_sel:DWORD src1_sel:WORD_0
	v_lshlrev_b32_sdwa v0, v0, v124 dst_sel:DWORD dst_unused:UNUSED_PAD src0_sel:DWORD src1_sel:WORD_0
	v_add3_u32 v0, 0, v1, v0
	ds_write2_b64 v0, v[64:65], v[70:71] offset1:5
	ds_write2_b64 v0, v[74:75], v[72:73] offset0:10 offset1:15
	ds_write_b64 v0, v[68:69] offset:160
.LBB0_23:
	s_or_b32 exec_lo, exec_lo, s1
	v_add_nc_u32_e32 v16, 0x1800, v116
	v_add_nc_u32_e32 v0, 0x600, v116
	;; [unrolled: 1-line block ×6, first 2 shown]
	s_waitcnt lgkmcnt(0)
	s_barrier
	buffer_gl0_inv
	ds_read2_b64 v[4:7], v116 offset1:125
	ds_read2_b64 v[0:3], v0 offset0:58 offset1:208
	ds_read2_b64 v[28:31], v16 offset0:32 offset1:157
	;; [unrolled: 1-line block ×6, first 2 shown]
	ds_read_b64 v[76:77], v116 offset:14800
	v_lshl_add_u32 v117, v111, 3, 0
	s_and_saveexec_b32 s1, s0
	s_cbranch_execz .LBB0_25
; %bb.24:
	ds_read_b64 v[64:65], v117 offset:3000
	ds_read_b64 v[70:71], v116 offset:6200
	;; [unrolled: 1-line block ×5, first 2 shown]
.LBB0_25:
	s_or_b32 exec_lo, exec_lo, s1
	v_add_f64 v[128:129], v[88:89], v[50:51]
	v_add_f64 v[130:131], v[92:93], v[10:11]
	;; [unrolled: 1-line block ×3, first 2 shown]
	v_add_f64 v[94:95], v[94:95], -v[98:99]
	v_add_f64 v[84:85], v[96:97], -v[84:85]
	v_add_f64 v[134:135], v[44:45], v[40:41]
	v_add_f64 v[136:137], v[54:55], v[38:39]
	;; [unrolled: 1-line block ×5, first 2 shown]
	s_mov_b32 s10, 0x134454ff
	s_mov_b32 s11, 0x3fee6f0e
	;; [unrolled: 1-line block ×4, first 2 shown]
	v_add_f64 v[96:97], v[92:93], -v[88:89]
	v_add_f64 v[98:99], v[10:11], -v[50:51]
	v_add_f64 v[142:143], v[14:15], v[54:55]
	v_add_f64 v[106:107], v[106:107], -v[114:115]
	v_add_f64 v[104:105], v[104:105], -v[112:113]
	v_add_f64 v[148:149], v[8:9], v[36:37]
	v_add_f64 v[66:67], v[90:91], -v[66:67]
	v_add_f64 v[46:47], v[58:59], -v[46:47]
	v_fma_f64 v[128:129], v[128:129], -0.5, v[12:13]
	v_fma_f64 v[12:13], v[130:131], -0.5, v[12:13]
	v_add_f64 v[130:131], v[62:63], v[82:83]
	v_add_f64 v[58:59], v[132:133], v[88:89]
	v_add_f64 v[78:79], v[78:79], -v[102:103]
	v_fma_f64 v[90:91], v[134:135], -0.5, v[14:15]
	v_fma_f64 v[14:15], v[136:137], -0.5, v[14:15]
	;; [unrolled: 1-line block ×4, first 2 shown]
	v_add_f64 v[144:145], v[52:53], v[60:61]
	v_add_f64 v[80:81], v[80:81], -v[86:87]
	v_add_f64 v[92:93], v[88:89], -v[92:93]
	;; [unrolled: 1-line block ×3, first 2 shown]
	s_mov_b32 s4, 0x4755a5e
	s_mov_b32 s5, 0x3fe2cf23
	;; [unrolled: 1-line block ×4, first 2 shown]
	v_add_f64 v[112:113], v[54:55], -v[44:45]
	v_add_f64 v[54:55], v[44:45], -v[54:55]
	;; [unrolled: 1-line block ×4, first 2 shown]
	v_add_f64 v[96:97], v[96:97], v[98:99]
	v_fma_f64 v[136:137], v[94:95], s[10:11], v[128:129]
	v_fma_f64 v[128:129], v[94:95], s[12:13], v[128:129]
	;; [unrolled: 1-line block ×3, first 2 shown]
	v_fma_f64 v[86:87], v[130:131], -0.5, v[52:53]
	v_fma_f64 v[52:53], v[150:151], -0.5, v[52:53]
	v_add_f64 v[44:45], v[142:143], v[44:45]
	v_add_f64 v[56:57], v[148:149], v[56:57]
	;; [unrolled: 1-line block ×3, first 2 shown]
	v_fma_f64 v[12:13], v[84:85], s[10:11], v[12:13]
	v_fma_f64 v[58:59], v[106:107], s[10:11], v[90:91]
	;; [unrolled: 1-line block ×8, first 2 shown]
	v_add_f64 v[148:149], v[42:43], -v[82:83]
	v_add_f64 v[114:115], v[38:39], -v[40:41]
	;; [unrolled: 1-line block ×3, first 2 shown]
	v_fma_f64 v[14:15], v[104:105], s[10:11], v[14:15]
	v_add_f64 v[132:133], v[48:49], -v[100:101]
	v_add_f64 v[92:93], v[92:93], v[138:139]
	v_fma_f64 v[136:137], v[84:85], s[4:5], v[136:137]
	v_fma_f64 v[84:85], v[84:85], s[6:7], v[128:129]
	;; [unrolled: 1-line block ×3, first 2 shown]
	v_add_f64 v[140:141], v[144:145], v[62:63]
	v_fma_f64 v[142:143], v[78:79], s[10:11], v[86:87]
	v_add_f64 v[144:145], v[60:61], -v[62:63]
	v_fma_f64 v[86:87], v[78:79], s[12:13], v[86:87]
	v_fma_f64 v[150:151], v[80:81], s[12:13], v[52:53]
	v_add_f64 v[60:61], v[62:63], -v[60:61]
	v_add_f64 v[62:63], v[82:83], -v[42:43]
	v_fma_f64 v[52:53], v[80:81], s[10:11], v[52:53]
	v_add_f64 v[138:139], v[100:101], -v[48:49]
	v_fma_f64 v[12:13], v[94:95], s[6:7], v[12:13]
	v_add_f64 v[40:41], v[44:45], v[40:41]
	v_fma_f64 v[44:45], v[104:105], s[4:5], v[58:59]
	v_fma_f64 v[90:91], v[104:105], s[6:7], v[90:91]
	;; [unrolled: 1-line block ×3, first 2 shown]
	v_add_f64 v[56:57], v[56:57], v[100:101]
	v_fma_f64 v[98:99], v[46:47], s[4:5], v[102:103]
	v_fma_f64 v[100:101], v[66:67], s[4:5], v[134:135]
	v_fma_f64 v[8:9], v[66:67], s[6:7], v[8:9]
	v_add_f64 v[58:59], v[112:113], v[114:115]
	v_add_f64 v[54:55], v[54:55], v[146:147]
	v_fma_f64 v[14:15], v[106:107], s[6:7], v[14:15]
	v_add_f64 v[88:89], v[88:89], v[132:133]
	v_add_f64 v[66:67], v[140:141], v[82:83]
	v_fma_f64 v[82:83], v[80:81], s[4:5], v[142:143]
	v_add_f64 v[102:103], v[144:145], v[148:149]
	v_fma_f64 v[86:87], v[80:81], s[6:7], v[86:87]
	v_fma_f64 v[104:105], v[78:79], s[4:5], v[150:151]
	v_fma_f64 v[46:47], v[46:47], s[6:7], v[130:131]
	v_add_f64 v[60:61], v[60:61], v[62:63]
	v_fma_f64 v[52:53], v[78:79], s[6:7], v[52:53]
	v_add_f64 v[36:37], v[36:37], v[138:139]
	s_mov_b32 s4, 0x372fe950
	s_mov_b32 s5, 0x3fd3c6ef
	v_add_f64 v[10:11], v[50:51], v[10:11]
	v_fma_f64 v[50:51], v[96:97], s[4:5], v[136:137]
	v_fma_f64 v[62:63], v[96:97], s[4:5], v[84:85]
	;; [unrolled: 1-line block ×4, first 2 shown]
	v_add_f64 v[38:39], v[40:41], v[38:39]
	v_add_f64 v[48:49], v[56:57], v[48:49]
	v_fma_f64 v[40:41], v[58:59], s[4:5], v[44:45]
	v_fma_f64 v[44:45], v[58:59], s[4:5], v[90:91]
	;; [unrolled: 1-line block ×4, first 2 shown]
	v_add_f64 v[66:67], v[66:67], v[42:43]
	v_fma_f64 v[54:55], v[88:89], s[4:5], v[98:99]
	v_fma_f64 v[80:81], v[102:103], s[4:5], v[82:83]
	;; [unrolled: 1-line block ×3, first 2 shown]
	s_waitcnt lgkmcnt(0)
	v_fma_f64 v[46:47], v[88:89], s[4:5], v[46:47]
	v_fma_f64 v[84:85], v[60:61], s[4:5], v[104:105]
	;; [unrolled: 1-line block ×5, first 2 shown]
	s_barrier
	buffer_gl0_inv
	ds_write2_b64 v126, v[10:11], v[50:51] offset1:5
	ds_write2_b64 v126, v[96:97], v[12:13] offset0:10 offset1:15
	ds_write_b64 v126, v[62:63] offset:160
	ds_write2_b64 v127, v[38:39], v[40:41] offset1:5
	ds_write2_b64 v127, v[58:59], v[14:15] offset0:10 offset1:15
	ds_write_b64 v127, v[44:45] offset:160
	;; [unrolled: 3-line block ×3, first 2 shown]
	s_and_saveexec_b32 s1, s0
	s_cbranch_execz .LBB0_27
; %bb.26:
	v_mov_b32_e32 v8, 3
	v_lshlrev_b32_sdwa v9, v8, v123 dst_sel:DWORD dst_unused:UNUSED_PAD src0_sel:DWORD src1_sel:WORD_0
	v_lshlrev_b32_sdwa v8, v8, v124 dst_sel:DWORD dst_unused:UNUSED_PAD src0_sel:DWORD src1_sel:WORD_0
	v_add3_u32 v8, 0, v9, v8
	ds_write2_b64 v8, v[66:67], v[80:81] offset1:5
	ds_write2_b64 v8, v[84:85], v[82:83] offset0:10 offset1:15
	ds_write_b64 v8, v[78:79] offset:160
.LBB0_27:
	s_or_b32 exec_lo, exec_lo, s1
	v_add_nc_u32_e32 v36, 0x1800, v116
	v_add_nc_u32_e32 v8, 0x600, v116
	;; [unrolled: 1-line block ×6, first 2 shown]
	s_waitcnt lgkmcnt(0)
	s_barrier
	buffer_gl0_inv
	ds_read2_b64 v[12:15], v116 offset1:125
	ds_read2_b64 v[8:11], v8 offset0:58 offset1:208
	ds_read2_b64 v[52:55], v36 offset0:32 offset1:157
	;; [unrolled: 1-line block ×6, first 2 shown]
	ds_read_b64 v[86:87], v116 offset:14800
	s_and_saveexec_b32 s1, s0
	s_cbranch_execz .LBB0_29
; %bb.28:
	ds_read_b64 v[66:67], v117 offset:3000
	ds_read_b64 v[80:81], v116 offset:6200
	;; [unrolled: 1-line block ×5, first 2 shown]
.LBB0_29:
	s_or_b32 exec_lo, exec_lo, s1
	v_mov_b32_e32 v56, 0x47af
	v_mul_lo_u16 v58, v122, 41
	v_mul_lo_u16 v59, v118, 41
	v_mov_b32_e32 v61, 6
	v_mov_b32_e32 v184, 0x3e8
	v_mul_u32_u24_sdwa v57, v120, v56 dst_sel:DWORD dst_unused:UNUSED_PAD src0_sel:WORD_0 src1_sel:DWORD
	v_lshrrev_b16 v96, 10, v58
	v_lshrrev_b16 v97, 10, v59
	v_mul_u32_u24_sdwa v56, v119, v56 dst_sel:DWORD dst_unused:UNUSED_PAD src0_sel:WORD_0 src1_sel:DWORD
	s_mov_b32 s10, 0x134454ff
	v_lshrrev_b32_e32 v57, 16, v57
	v_mul_lo_u16 v59, v96, 25
	v_mul_u32_u24_sdwa v186, v97, v184 dst_sel:DWORD dst_unused:UNUSED_PAD src0_sel:WORD_0 src1_sel:DWORD
	v_lshrrev_b32_e32 v56, 16, v56
	v_mul_u32_u24_sdwa v187, v96, v184 dst_sel:DWORD dst_unused:UNUSED_PAD src0_sel:WORD_0 src1_sel:DWORD
	v_sub_nc_u16 v60, v120, v57
	v_sub_nc_u16 v107, v121, v59
	s_mov_b32 s11, 0xbfee6f0e
	v_sub_nc_u16 v59, v119, v56
	s_mov_b32 s13, 0x3fee6f0e
	v_lshrrev_b16 v58, 1, v60
	v_mul_lo_u16 v60, v97, 25
	s_mov_b32 s12, s10
	s_mov_b32 s4, 0x4755a5e
	;; [unrolled: 1-line block ×3, first 2 shown]
	v_add_nc_u16 v57, v58, v57
	v_sub_nc_u16 v183, v111, v60
	s_mov_b32 s7, 0x3fe2cf23
	s_mov_b32 s6, s4
	v_mov_b32_e32 v185, 3
	v_lshrrev_b16 v106, 4, v57
	v_lshlrev_b32_sdwa v57, v61, v107 dst_sel:DWORD dst_unused:UNUSED_PAD src0_sel:DWORD src1_sel:BYTE_0
	v_lshlrev_b32_sdwa v58, v61, v183 dst_sel:DWORD dst_unused:UNUSED_PAD src0_sel:DWORD src1_sel:BYTE_0
	s_clause 0x3
	global_load_dwordx4 v[121:124], v57, s[8:9] offset:336
	global_load_dwordx4 v[125:128], v58, s[8:9] offset:368
	global_load_dwordx4 v[129:132], v58, s[8:9] offset:336
	global_load_dwordx4 v[133:136], v57, s[8:9] offset:368
	v_mul_lo_u16 v60, v106, 25
	s_clause 0x3
	global_load_dwordx4 v[137:140], v58, s[8:9] offset:320
	global_load_dwordx4 v[141:144], v58, s[8:9] offset:352
	;; [unrolled: 1-line block ×4, first 2 shown]
	v_lshrrev_b16 v58, 1, v59
	v_sub_nc_u16 v112, v120, v60
	v_add_nc_u16 v56, v58, v56
	v_lshlrev_b32_sdwa v57, v61, v112 dst_sel:DWORD dst_unused:UNUSED_PAD src0_sel:DWORD src1_sel:WORD_0
	s_clause 0x3
	global_load_dwordx4 v[153:156], v57, s[8:9] offset:320
	global_load_dwordx4 v[157:160], v57, s[8:9] offset:336
	;; [unrolled: 1-line block ×4, first 2 shown]
	v_lshrrev_b16 v56, 4, v56
	v_mul_lo_u16 v56, v56, 25
	v_sub_nc_u16 v56, v119, v56
	v_and_b32_e32 v113, 0xffff, v56
	v_lshlrev_b32_e32 v88, 6, v113
	s_clause 0x3
	global_load_dwordx4 v[60:63], v88, s[8:9] offset:320
	global_load_dwordx4 v[56:59], v88, s[8:9] offset:336
	;; [unrolled: 1-line block ×4, first 2 shown]
	s_waitcnt vmcnt(0) lgkmcnt(0)
	s_barrier
	buffer_gl0_inv
	v_mul_f64 v[90:91], v[54:55], v[123:124]
	v_mul_f64 v[92:93], v[48:49], v[127:128]
	;; [unrolled: 1-line block ×20, first 2 shown]
	v_fma_f64 v[98:99], v[32:33], v[125:126], v[92:93]
	v_fma_f64 v[96:97], v[28:29], v[129:130], v[88:89]
	;; [unrolled: 1-line block ×8, first 2 shown]
	v_mul_f64 v[18:19], v[26:27], v[155:156]
	v_mul_f64 v[32:33], v[76:77], v[167:168]
	v_mul_f64 v[34:35], v[16:17], v[159:160]
	v_mul_f64 v[114:115], v[22:23], v[163:164]
	v_fma_f64 v[104:105], v[10:11], v[137:138], -v[139:140]
	v_fma_f64 v[10:11], v[48:49], v[125:126], -v[127:128]
	;; [unrolled: 1-line block ×3, first 2 shown]
	v_fma_f64 v[92:93], v[26:27], v[153:154], v[131:132]
	v_fma_f64 v[90:91], v[16:17], v[157:158], v[177:178]
	;; [unrolled: 1-line block ×4, first 2 shown]
	v_fma_f64 v[26:27], v[52:53], v[129:130], -v[118:119]
	v_fma_f64 v[2:3], v[38:39], v[141:142], -v[143:144]
	;; [unrolled: 1-line block ×5, first 2 shown]
	v_add_f64 v[40:41], v[96:97], v[102:103]
	v_add_f64 v[118:119], v[100:101], v[98:99]
	v_add_f64 v[128:129], v[100:101], -v[96:97]
	v_add_f64 v[124:125], v[6:7], v[88:89]
	v_add_f64 v[120:121], v[28:29], v[24:25]
	;; [unrolled: 1-line block ×3, first 2 shown]
	v_fma_f64 v[54:55], v[46:47], v[153:154], -v[18:19]
	v_fma_f64 v[18:19], v[86:87], v[165:166], -v[32:33]
	;; [unrolled: 1-line block ×4, first 2 shown]
	v_add_f64 v[36:37], v[4:5], v[100:101]
	v_add_f64 v[42:43], v[104:105], -v[10:11]
	v_add_f64 v[130:131], v[98:99], -v[102:103]
	;; [unrolled: 1-line block ×4, first 2 shown]
	v_add_f64 v[32:33], v[90:91], v[94:95]
	v_add_f64 v[34:35], v[92:93], v[76:77]
	v_add_f64 v[142:143], v[30:31], -v[24:25]
	v_add_f64 v[126:127], v[26:27], -v[2:3]
	;; [unrolled: 1-line block ×5, first 2 shown]
	v_fma_f64 v[40:41], v[40:41], -0.5, v[4:5]
	v_fma_f64 v[4:5], v[118:119], -0.5, v[4:5]
	v_add_f64 v[118:119], v[52:53], -v[20:21]
	v_add_f64 v[148:149], v[92:93], -v[90:91]
	v_fma_f64 v[120:121], v[120:121], -0.5, v[6:7]
	v_fma_f64 v[6:7], v[122:123], -0.5, v[6:7]
	v_add_f64 v[122:123], v[0:1], v[92:93]
	v_add_f64 v[136:137], v[54:55], -v[18:19]
	v_add_f64 v[150:151], v[76:77], -v[94:95]
	v_add_f64 v[138:139], v[50:51], -v[22:23]
	v_add_f64 v[36:37], v[36:37], v[96:97]
	v_add_f64 v[124:125], v[124:125], v[28:29]
	v_add_f64 v[152:153], v[90:91], -v[92:93]
	v_add_f64 v[154:155], v[94:95], -v[76:77]
	v_mul_f64 v[38:39], v[80:81], v[62:63]
	v_fma_f64 v[32:33], v[32:33], -0.5, v[0:1]
	v_fma_f64 v[0:1], v[34:35], -0.5, v[0:1]
	v_add_f64 v[34:35], v[102:103], -v[98:99]
	v_mul_f64 v[44:45], v[70:71], v[62:63]
	v_mul_f64 v[62:63], v[84:85], v[58:59]
	;; [unrolled: 1-line block ×4, first 2 shown]
	v_fma_f64 v[156:157], v[42:43], s[10:11], v[40:41]
	v_fma_f64 v[158:159], v[126:127], s[12:13], v[4:5]
	v_fma_f64 v[4:5], v[126:127], s[10:11], v[4:5]
	v_fma_f64 v[40:41], v[42:43], s[12:13], v[40:41]
	v_fma_f64 v[160:161], v[134:135], s[10:11], v[120:121]
	v_fma_f64 v[120:121], v[134:135], s[12:13], v[120:121]
	v_fma_f64 v[162:163], v[118:119], s[12:13], v[6:7]
	v_fma_f64 v[6:7], v[118:119], s[10:11], v[6:7]
	v_add_f64 v[122:123], v[122:123], v[90:91]
	v_mul_f64 v[86:87], v[72:73], v[171:172]
	v_mul_f64 v[114:115], v[78:79], v[175:176]
	;; [unrolled: 1-line block ×3, first 2 shown]
	v_add_f64 v[128:129], v[128:129], v[130:131]
	v_add_f64 v[124:125], v[124:125], v[24:25]
	v_lshlrev_b32_sdwa v168, v185, v183 dst_sel:DWORD dst_unused:UNUSED_PAD src0_sel:DWORD src1_sel:BYTE_0
	v_fma_f64 v[164:165], v[136:137], s[10:11], v[32:33]
	v_fma_f64 v[166:167], v[138:139], s[12:13], v[0:1]
	;; [unrolled: 1-line block ×4, first 2 shown]
	v_add_f64 v[130:131], v[132:133], v[34:35]
	v_add_f64 v[132:133], v[140:141], v[142:143]
	;; [unrolled: 1-line block ×5, first 2 shown]
	v_fma_f64 v[148:149], v[126:127], s[4:5], v[156:157]
	v_fma_f64 v[150:151], v[42:43], s[4:5], v[158:159]
	;; [unrolled: 1-line block ×4, first 2 shown]
	v_add_f64 v[146:147], v[152:153], v[154:155]
	v_fma_f64 v[152:153], v[118:119], s[4:5], v[160:161]
	v_fma_f64 v[118:119], v[118:119], s[6:7], v[120:121]
	;; [unrolled: 1-line block ×4, first 2 shown]
	v_add_f64 v[122:123], v[122:123], v[94:95]
	v_fma_f64 v[40:41], v[70:71], v[60:61], v[38:39]
	v_fma_f64 v[36:37], v[80:81], v[60:61], -v[44:45]
	v_fma_f64 v[42:43], v[74:75], v[56:57], v[62:63]
	v_fma_f64 v[134:135], v[138:139], s[4:5], v[164:165]
	;; [unrolled: 1-line block ×5, first 2 shown]
	v_fma_f64 v[34:35], v[84:85], v[56:57], -v[46:47]
	v_fma_f64 v[44:45], v[72:73], v[169:170], v[58:59]
	v_fma_f64 v[32:33], v[82:83], v[169:170], -v[86:87]
	v_fma_f64 v[46:47], v[68:69], v[173:174], v[114:115]
	v_add_f64 v[60:61], v[142:143], v[98:99]
	v_fma_f64 v[68:69], v[128:129], s[14:15], v[148:149]
	v_fma_f64 v[38:39], v[78:79], v[173:174], -v[171:172]
	v_fma_f64 v[72:73], v[130:131], s[14:15], v[150:151]
	v_fma_f64 v[4:5], v[130:131], s[14:15], v[4:5]
	;; [unrolled: 1-line block ×3, first 2 shown]
	v_add_f64 v[62:63], v[124:125], v[30:31]
	v_fma_f64 v[74:75], v[132:133], s[14:15], v[152:153]
	v_fma_f64 v[82:83], v[140:141], s[14:15], v[120:121]
	;; [unrolled: 1-line block ×4, first 2 shown]
	v_add_f64 v[84:85], v[122:123], v[76:77]
	v_lshlrev_b32_sdwa v56, v185, v107 dst_sel:DWORD dst_unused:UNUSED_PAD src0_sel:DWORD src1_sel:BYTE_0
	v_mul_u32_u24_sdwa v57, v106, v184 dst_sel:DWORD dst_unused:UNUSED_PAD src0_sel:WORD_0 src1_sel:DWORD
	v_fma_f64 v[86:87], v[144:145], s[14:15], v[134:135]
	v_fma_f64 v[114:115], v[146:147], s[14:15], v[154:155]
	;; [unrolled: 1-line block ×4, first 2 shown]
	v_lshlrev_b32_sdwa v78, v185, v112 dst_sel:DWORD dst_unused:UNUSED_PAD src0_sel:DWORD src1_sel:WORD_0
	v_add3_u32 v59, 0, v186, v168
	v_add3_u32 v58, 0, v187, v56
	v_lshl_add_u32 v56, v113, 3, 0
	v_add3_u32 v57, 0, v57, v78
	ds_write2_b64 v59, v[60:61], v[68:69] offset1:25
	ds_write2_b64 v59, v[72:73], v[4:5] offset0:50 offset1:75
	ds_write_b64 v59, v[70:71] offset:800
	ds_write2_b64 v58, v[62:63], v[74:75] offset1:25
	ds_write2_b64 v58, v[82:83], v[6:7] offset0:50 offset1:75
	ds_write_b64 v58, v[80:81] offset:800
	;; [unrolled: 3-line block ×3, first 2 shown]
	s_and_saveexec_b32 s1, s0
	s_cbranch_execz .LBB0_31
; %bb.30:
	v_add_f64 v[4:5], v[42:43], v[44:45]
	v_add_f64 v[0:1], v[40:41], v[46:47]
	v_add_f64 v[6:7], v[36:37], -v[38:39]
	v_add_f64 v[62:63], v[64:65], v[40:41]
	v_add_f64 v[60:61], v[34:35], -v[32:33]
	v_add_f64 v[68:69], v[44:45], -v[46:47]
	;; [unrolled: 1-line block ×4, first 2 shown]
	v_fma_f64 v[4:5], v[4:5], -0.5, v[64:65]
	v_fma_f64 v[0:1], v[0:1], -0.5, v[64:65]
	v_add_f64 v[64:65], v[42:43], -v[40:41]
	v_add_f64 v[62:63], v[62:63], v[42:43]
	v_fma_f64 v[78:79], v[6:7], s[10:11], v[4:5]
	v_fma_f64 v[74:75], v[60:61], s[10:11], v[0:1]
	;; [unrolled: 1-line block ×4, first 2 shown]
	v_add_f64 v[64:65], v[64:65], v[68:69]
	v_add_f64 v[68:69], v[70:71], v[72:73]
	;; [unrolled: 1-line block ×3, first 2 shown]
	v_fma_f64 v[72:73], v[60:61], s[4:5], v[78:79]
	v_fma_f64 v[70:71], v[6:7], s[6:7], v[74:75]
	;; [unrolled: 1-line block ×4, first 2 shown]
	v_add_f64 v[6:7], v[62:63], v[46:47]
	v_fma_f64 v[62:63], v[68:69], s[14:15], v[72:73]
	v_fma_f64 v[60:61], v[64:65], s[14:15], v[70:71]
	;; [unrolled: 1-line block ×4, first 2 shown]
	v_add_nc_u32_e32 v64, 0x3800, v56
	ds_write2_b64 v64, v[6:7], v[62:63] offset0:83 offset1:108
	ds_write2_b64 v64, v[0:1], v[60:61] offset0:133 offset1:158
	ds_write_b64 v56, v[4:5] offset:15800
.LBB0_31:
	s_or_b32 exec_lo, exec_lo, s1
	v_add_f64 v[0:1], v[26:27], v[2:3]
	v_add_f64 v[4:5], v[104:105], v[10:11]
	;; [unrolled: 1-line block ×7, first 2 shown]
	v_add_f64 v[70:71], v[100:101], -v[98:99]
	v_add_f64 v[72:73], v[96:97], -v[102:103]
	v_add_f64 v[82:83], v[14:15], v[48:49]
	v_add_f64 v[84:85], v[8:9], v[54:55]
	v_add_f64 v[24:25], v[28:29], -v[24:25]
	v_add_f64 v[28:29], v[92:93], -v[76:77]
	;; [unrolled: 1-line block ×8, first 2 shown]
	s_waitcnt lgkmcnt(0)
	s_barrier
	buffer_gl0_inv
	v_fma_f64 v[0:1], v[0:1], -0.5, v[12:13]
	v_fma_f64 v[4:5], v[4:5], -0.5, v[12:13]
	v_add_f64 v[12:13], v[88:89], -v[30:31]
	v_fma_f64 v[6:7], v[6:7], -0.5, v[14:15]
	v_fma_f64 v[14:15], v[60:61], -0.5, v[14:15]
	;; [unrolled: 1-line block ×3, first 2 shown]
	v_add_f64 v[60:61], v[90:91], -v[94:95]
	v_fma_f64 v[8:9], v[64:65], -0.5, v[8:9]
	v_add_f64 v[62:63], v[48:49], -v[52:53]
	v_add_f64 v[64:65], v[16:17], -v[20:21]
	;; [unrolled: 1-line block ×5, first 2 shown]
	v_add_f64 v[26:27], v[68:69], v[26:27]
	v_add_f64 v[52:53], v[82:83], v[52:53]
	;; [unrolled: 1-line block ×3, first 2 shown]
	v_add_f64 v[90:91], v[18:19], -v[22:23]
	v_add_f64 v[74:75], v[74:75], v[78:79]
	v_add_f64 v[78:79], v[80:81], v[86:87]
	v_fma_f64 v[68:69], v[70:71], s[12:13], v[0:1]
	v_fma_f64 v[0:1], v[70:71], s[10:11], v[0:1]
	;; [unrolled: 1-line block ×12, first 2 shown]
	v_add_f64 v[62:63], v[62:63], v[64:65]
	v_add_f64 v[54:55], v[54:55], v[92:93]
	;; [unrolled: 1-line block ×7, first 2 shown]
	v_fma_f64 v[50:51], v[72:73], s[6:7], v[68:69]
	v_fma_f64 v[52:53], v[72:73], s[4:5], v[0:1]
	;; [unrolled: 1-line block ×12, first 2 shown]
	v_add_nc_u32_e32 v28, 0x7c0, v116
	ds_read2_b64 v[0:3], v116 offset1:125
	v_add_f64 v[76:77], v[20:21], v[16:17]
	v_add_nc_u32_e32 v20, 0x3000, v116
	v_add_f64 v[80:81], v[22:23], v[18:19]
	ds_read2_b64 v[16:19], v28 offset0:2 offset1:252
	v_add_f64 v[72:73], v[26:27], v[10:11]
	v_fma_f64 v[50:51], v[74:75], s[14:15], v[50:51]
	v_fma_f64 v[52:53], v[74:75], s[14:15], v[52:53]
	;; [unrolled: 1-line block ×6, first 2 shown]
	v_add_nc_u32_e32 v4, 0x1000, v116
	v_add_nc_u32_e32 v6, 0x2000, v116
	;; [unrolled: 1-line block ×3, first 2 shown]
	v_fma_f64 v[78:79], v[48:49], s[14:15], v[24:25]
	v_fma_f64 v[60:61], v[54:55], s[14:15], v[60:61]
	;; [unrolled: 1-line block ×3, first 2 shown]
	v_add_nc_u32_e32 v8, 0x2800, v116
	v_fma_f64 v[48:49], v[48:49], s[14:15], v[12:13]
	v_fma_f64 v[82:83], v[64:65], s[14:15], v[14:15]
	;; [unrolled: 1-line block ×3, first 2 shown]
	ds_read2_b64 v[24:27], v4 offset0:113 offset1:238
	ds_read2_b64 v[12:15], v5 offset0:107 offset1:232
	ds_read2_b64 v[4:7], v6 offset0:101 offset1:226
	ds_read2_b64 v[8:11], v8 offset0:95 offset1:220
	ds_read_b64 v[28:29], v117 offset:3000
	ds_read_b64 v[30:31], v116 offset:15000
	ds_read2_b64 v[20:23], v20 offset0:89 offset1:214
	s_waitcnt lgkmcnt(0)
	s_barrier
	buffer_gl0_inv
	ds_write2_b64 v59, v[72:73], v[50:51] offset1:25
	ds_write2_b64 v59, v[68:69], v[74:75] offset0:50 offset1:75
	ds_write_b64 v59, v[52:53] offset:800
	ds_write2_b64 v58, v[76:77], v[70:71] offset1:25
	ds_write2_b64 v58, v[78:79], v[48:49] offset0:50 offset1:75
	ds_write_b64 v58, v[62:63] offset:800
	ds_write2_b64 v57, v[80:81], v[82:83] offset1:25
	ds_write2_b64 v57, v[60:61], v[54:55] offset0:50 offset1:75
	ds_write_b64 v57, v[64:65] offset:800
	s_and_saveexec_b32 s1, s0
	s_cbranch_execz .LBB0_33
; %bb.32:
	v_add_f64 v[48:49], v[34:35], v[32:33]
	v_add_f64 v[50:51], v[36:37], v[38:39]
	;; [unrolled: 1-line block ×3, first 2 shown]
	v_add_f64 v[40:41], v[40:41], -v[46:47]
	v_add_f64 v[42:43], v[42:43], -v[44:45]
	s_mov_b32 s4, 0x134454ff
	s_mov_b32 s5, 0x3fee6f0e
	;; [unrolled: 1-line block ×4, first 2 shown]
	v_add_f64 v[54:55], v[32:33], -v[38:39]
	v_fma_f64 v[44:45], v[48:49], -0.5, v[66:67]
	v_fma_f64 v[46:47], v[50:51], -0.5, v[66:67]
	v_add_f64 v[48:49], v[36:37], -v[34:35]
	v_add_f64 v[50:51], v[38:39], -v[32:33]
	;; [unrolled: 1-line block ×3, first 2 shown]
	v_add_f64 v[34:35], v[52:53], v[34:35]
	v_fma_f64 v[52:53], v[40:41], s[4:5], v[44:45]
	v_fma_f64 v[57:58], v[42:43], s[6:7], v[46:47]
	;; [unrolled: 1-line block ×4, first 2 shown]
	s_mov_b32 s4, 0x4755a5e
	s_mov_b32 s5, 0x3fe2cf23
	;; [unrolled: 1-line block ×4, first 2 shown]
	v_add_f64 v[48:49], v[48:49], v[50:51]
	v_add_f64 v[32:33], v[34:35], v[32:33]
	;; [unrolled: 1-line block ×3, first 2 shown]
	v_fma_f64 v[34:35], v[42:43], s[4:5], v[52:53]
	v_fma_f64 v[50:51], v[40:41], s[4:5], v[57:58]
	;; [unrolled: 1-line block ×4, first 2 shown]
	s_mov_b32 s4, 0x372fe950
	s_mov_b32 s5, 0x3fd3c6ef
	v_add_f64 v[32:33], v[32:33], v[38:39]
	v_fma_f64 v[34:35], v[48:49], s[4:5], v[34:35]
	v_fma_f64 v[38:39], v[36:37], s[4:5], v[50:51]
	;; [unrolled: 1-line block ×4, first 2 shown]
	v_add_nc_u32_e32 v42, 0x3800, v56
	ds_write2_b64 v42, v[32:33], v[34:35] offset0:83 offset1:108
	ds_write2_b64 v42, v[38:39], v[36:37] offset0:133 offset1:158
	ds_write_b64 v56, v[40:41] offset:15800
.LBB0_33:
	s_or_b32 exec_lo, exec_lo, s1
	s_waitcnt lgkmcnt(0)
	s_barrier
	buffer_gl0_inv
	s_and_saveexec_b32 s0, vcc_lo
	s_cbranch_execz .LBB0_35
; %bb.34:
	v_mul_u32_u24_e32 v32, 15, v111
	v_add_nc_u32_e32 v96, 0x7c0, v116
	v_add_nc_u32_e32 v100, 0x1800, v116
	;; [unrolled: 1-line block ×4, first 2 shown]
	v_lshlrev_b32_e32 v60, 4, v32
	v_add_nc_u32_e32 v118, 0x1000, v116
	v_add_nc_u32_e32 v120, 0x3000, v116
	v_mov_b32_e32 v111, 0
	s_mov_b32 s5, 0xbfe6a09e
	v_add_co_u32 v64, s0, s8, v60
	v_add_co_ci_u32_e64 v65, null, s9, 0, s0
	s_clause 0x7
	global_load_dwordx4 v[32:35], v60, s[8:9] offset:2032
	global_load_dwordx4 v[36:39], v60, s[8:9] offset:2016
	;; [unrolled: 1-line block ×8, first 2 shown]
	v_add_co_u32 v84, vcc_lo, 0x800, v64
	v_add_co_ci_u32_e32 v85, vcc_lo, 0, v65, vcc_lo
	v_add_co_u32 v88, vcc_lo, 0x840, v64
	v_add_co_ci_u32_e32 v89, vcc_lo, 0, v65, vcc_lo
	s_clause 0x6
	global_load_dwordx4 v[64:67], v[84:85], off offset:48
	global_load_dwordx4 v[68:71], v[84:85], off offset:16
	;; [unrolled: 1-line block ×3, first 2 shown]
	global_load_dwordx4 v[76:79], v[84:85], off
	global_load_dwordx4 v[80:83], v[84:85], off offset:64
	global_load_dwordx4 v[84:87], v[84:85], off offset:32
	;; [unrolled: 1-line block ×3, first 2 shown]
	ds_read2_b64 v[92:95], v116 offset1:125
	ds_read2_b64 v[96:99], v96 offset0:2 offset1:252
	ds_read_b64 v[124:125], v117 offset:3000
	ds_read_b64 v[126:127], v116 offset:15000
	ds_read2_b64 v[100:103], v100 offset0:107 offset1:232
	ds_read2_b64 v[104:107], v104 offset0:95 offset1:220
	;; [unrolled: 1-line block ×5, first 2 shown]
	s_mov_b32 s0, 0x667f3bcd
	s_mov_b32 s1, 0x3fe6a09e
	;; [unrolled: 1-line block ×11, first 2 shown]
	s_waitcnt vmcnt(14)
	v_mul_f64 v[128:129], v[14:15], v[34:35]
	s_waitcnt vmcnt(13)
	v_mul_f64 v[142:143], v[12:13], v[36:37]
	;; [unrolled: 2-line block ×5, first 2 shown]
	s_waitcnt lgkmcnt(7)
	v_mul_f64 v[46:47], v[96:97], v[46:47]
	v_mul_f64 v[26:27], v[26:27], v[50:51]
	s_waitcnt vmcnt(7)
	v_mul_f64 v[136:137], v[2:3], v[62:63]
	v_mul_f64 v[138:139], v[24:25], v[52:53]
	;; [unrolled: 1-line block ×3, first 2 shown]
	s_waitcnt lgkmcnt(6)
	v_mul_f64 v[58:59], v[124:125], v[58:59]
	v_mul_f64 v[12:13], v[12:13], v[38:39]
	;; [unrolled: 1-line block ×5, first 2 shown]
	s_waitcnt lgkmcnt(4)
	v_mul_f64 v[34:35], v[102:103], v[34:35]
	s_waitcnt vmcnt(6)
	v_mul_f64 v[144:145], v[10:11], v[64:65]
	s_waitcnt vmcnt(5)
	;; [unrolled: 2-line block ×3, first 2 shown]
	v_mul_f64 v[148:149], v[22:23], v[72:73]
	s_waitcnt lgkmcnt(2)
	v_mul_f64 v[70:71], v[114:115], v[70:71]
	v_mul_f64 v[22:23], v[22:23], v[74:75]
	s_waitcnt vmcnt(3)
	v_mul_f64 v[150:151], v[4:5], v[78:79]
	s_waitcnt vmcnt(2)
	v_mul_f64 v[152:153], v[20:21], v[80:81]
	s_waitcnt vmcnt(1)
	v_mul_f64 v[154:155], v[8:9], v[86:87]
	s_waitcnt vmcnt(0)
	v_mul_f64 v[156:157], v[30:31], v[88:89]
	v_mul_f64 v[86:87], v[104:105], v[86:87]
	;; [unrolled: 1-line block ×6, first 2 shown]
	v_fma_f64 v[102:103], v[102:103], v[32:33], -v[128:129]
	v_fma_f64 v[42:43], v[98:99], v[42:43], v[130:131]
	v_fma_f64 v[96:97], v[96:97], v[44:45], -v[132:133]
	s_waitcnt lgkmcnt(1)
	v_fma_f64 v[50:51], v[118:119], v[50:51], v[134:135]
	v_fma_f64 v[16:17], v[16:17], v[44:45], v[46:47]
	v_fma_f64 v[26:27], v[118:119], v[48:49], -v[26:27]
	v_fma_f64 v[44:45], v[94:95], v[60:61], -v[136:137]
	v_fma_f64 v[46:47], v[116:117], v[54:55], v[138:139]
	v_fma_f64 v[48:49], v[124:125], v[56:57], -v[140:141]
	v_fma_f64 v[38:39], v[100:101], v[38:39], v[142:143]
	v_fma_f64 v[28:29], v[28:29], v[56:57], v[58:59]
	v_fma_f64 v[12:13], v[100:101], v[36:37], -v[12:13]
	v_fma_f64 v[2:3], v[2:3], v[60:61], v[62:63]
	v_fma_f64 v[24:25], v[116:117], v[52:53], -v[24:25]
	v_fma_f64 v[18:19], v[98:99], v[40:41], -v[18:19]
	v_fma_f64 v[14:15], v[14:15], v[32:33], v[34:35]
	v_fma_f64 v[32:33], v[106:107], v[66:67], v[144:145]
	v_fma_f64 v[34:35], v[114:115], v[68:69], -v[146:147]
	s_waitcnt lgkmcnt(0)
	v_fma_f64 v[36:37], v[122:123], v[74:75], v[148:149]
	v_fma_f64 v[6:7], v[6:7], v[68:69], v[70:71]
	v_fma_f64 v[22:23], v[122:123], v[72:73], -v[22:23]
	v_fma_f64 v[40:41], v[112:113], v[76:77], -v[150:151]
	v_fma_f64 v[52:53], v[120:121], v[82:83], v[152:153]
	v_fma_f64 v[54:55], v[104:105], v[84:85], -v[154:155]
	v_fma_f64 v[56:57], v[126:127], v[90:91], v[156:157]
	v_fma_f64 v[8:9], v[8:9], v[84:85], v[86:87]
	v_fma_f64 v[30:31], v[126:127], v[88:89], -v[30:31]
	v_fma_f64 v[4:5], v[4:5], v[76:77], v[78:79]
	v_fma_f64 v[20:21], v[120:121], v[80:81], -v[20:21]
	v_fma_f64 v[10:11], v[106:107], v[64:65], -v[10:11]
	v_add_f64 v[60:61], v[92:93], -v[102:103]
	v_lshlrev_b64 v[58:59], 4, v[110:111]
	v_add_co_u32 v62, vcc_lo, s2, v108
	v_add_co_ci_u32_e32 v63, vcc_lo, s3, v109, vcc_lo
	v_add_f64 v[14:15], v[0:1], -v[14:15]
	v_add_f64 v[32:33], v[42:43], -v[32:33]
	v_add_f64 v[34:35], v[96:97], -v[34:35]
	v_add_f64 v[36:37], v[50:51], -v[36:37]
	v_add_f64 v[6:7], v[16:17], -v[6:7]
	v_add_f64 v[22:23], v[26:27], -v[22:23]
	v_add_f64 v[40:41], v[44:45], -v[40:41]
	v_add_f64 v[52:53], v[46:47], -v[52:53]
	v_add_f64 v[54:55], v[48:49], -v[54:55]
	v_add_f64 v[56:57], v[38:39], -v[56:57]
	v_add_f64 v[8:9], v[28:29], -v[8:9]
	v_add_f64 v[30:31], v[12:13], -v[30:31]
	v_add_f64 v[4:5], v[2:3], -v[4:5]
	v_add_f64 v[20:21], v[24:25], -v[20:21]
	v_add_f64 v[10:11], v[18:19], -v[10:11]
	v_add_co_u32 v64, vcc_lo, v62, v58
	v_add_co_ci_u32_e32 v65, vcc_lo, v63, v59, vcc_lo
	v_fma_f64 v[58:59], v[92:93], 2.0, -v[60:61]
	v_add_co_u32 v66, vcc_lo, 0x800, v64
	v_fma_f64 v[0:1], v[0:1], 2.0, -v[14:15]
	v_add_f64 v[62:63], v[60:61], -v[32:33]
	v_fma_f64 v[32:33], v[42:43], 2.0, -v[32:33]
	v_add_f64 v[68:69], v[34:35], -v[36:37]
	v_fma_f64 v[16:17], v[16:17], 2.0, -v[6:7]
	v_add_f64 v[70:71], v[6:7], v[22:23]
	v_fma_f64 v[22:23], v[26:27], 2.0, -v[22:23]
	v_add_f64 v[72:73], v[40:41], -v[52:53]
	v_fma_f64 v[26:27], v[46:47], 2.0, -v[52:53]
	v_add_f64 v[74:75], v[54:55], -v[56:57]
	v_add_co_ci_u32_e32 v67, vcc_lo, 0, v65, vcc_lo
	v_add_f64 v[76:77], v[8:9], v[30:31]
	v_add_f64 v[78:79], v[4:5], v[20:21]
	;; [unrolled: 1-line block ×3, first 2 shown]
	v_fma_f64 v[10:11], v[18:19], 2.0, -v[10:11]
	v_fma_f64 v[18:19], v[50:51], 2.0, -v[36:37]
	v_fma_f64 v[36:37], v[44:45], 2.0, -v[40:41]
	v_fma_f64 v[20:21], v[24:25], 2.0, -v[20:21]
	v_fma_f64 v[24:25], v[28:29], 2.0, -v[8:9]
	v_fma_f64 v[28:29], v[38:39], 2.0, -v[56:57]
	v_fma_f64 v[2:3], v[2:3], 2.0, -v[4:5]
	v_fma_f64 v[38:39], v[96:97], 2.0, -v[34:35]
	v_fma_f64 v[44:45], v[48:49], 2.0, -v[54:55]
	v_fma_f64 v[12:13], v[12:13], 2.0, -v[30:31]
	v_fma_f64 v[30:31], v[60:61], 2.0, -v[62:63]
	v_fma_f64 v[34:35], v[34:35], 2.0, -v[68:69]
	v_fma_f64 v[6:7], v[6:7], 2.0, -v[70:71]
	v_add_f64 v[32:33], v[0:1], -v[32:33]
	v_fma_f64 v[40:41], v[40:41], 2.0, -v[72:73]
	v_fma_f64 v[46:47], v[68:69], s[0:1], v[62:63]
	v_fma_f64 v[42:43], v[54:55], 2.0, -v[74:75]
	v_fma_f64 v[48:49], v[74:75], s[0:1], v[72:73]
	v_add_co_u32 v82, vcc_lo, 0x1000, v64
	v_fma_f64 v[8:9], v[8:9], 2.0, -v[76:77]
	v_fma_f64 v[4:5], v[4:5], 2.0, -v[78:79]
	;; [unrolled: 1-line block ×3, first 2 shown]
	v_fma_f64 v[50:51], v[76:77], s[0:1], v[78:79]
	v_fma_f64 v[52:53], v[70:71], s[0:1], v[80:81]
	v_add_f64 v[10:11], v[58:59], -v[10:11]
	v_add_f64 v[18:19], v[16:17], -v[18:19]
	v_add_f64 v[28:29], v[24:25], -v[28:29]
	v_add_f64 v[26:27], v[2:3], -v[26:27]
	v_add_f64 v[22:23], v[38:39], -v[22:23]
	v_add_f64 v[20:21], v[36:37], -v[20:21]
	v_add_f64 v[12:13], v[44:45], -v[12:13]
	v_add_co_ci_u32_e32 v83, vcc_lo, 0, v65, vcc_lo
	v_fma_f64 v[54:55], v[34:35], s[4:5], v[30:31]
	v_fma_f64 v[0:1], v[0:1], 2.0, -v[32:33]
	v_add_co_u32 v84, vcc_lo, 0x1800, v64
	v_fma_f64 v[56:57], v[42:43], s[4:5], v[40:41]
	v_fma_f64 v[48:49], v[76:77], s[4:5], v[48:49]
	;; [unrolled: 1-line block ×3, first 2 shown]
	v_add_co_ci_u32_e32 v85, vcc_lo, 0, v65, vcc_lo
	v_fma_f64 v[60:61], v[8:9], s[4:5], v[4:5]
	v_fma_f64 v[86:87], v[6:7], s[4:5], v[14:15]
	;; [unrolled: 1-line block ×4, first 2 shown]
	v_fma_f64 v[58:59], v[58:59], 2.0, -v[10:11]
	v_fma_f64 v[16:17], v[16:17], 2.0, -v[18:19]
	v_fma_f64 v[24:25], v[24:25], 2.0, -v[28:29]
	v_fma_f64 v[2:3], v[2:3], 2.0, -v[26:27]
	v_fma_f64 v[38:39], v[38:39], 2.0, -v[22:23]
	v_fma_f64 v[36:37], v[36:37], 2.0, -v[20:21]
	v_fma_f64 v[44:45], v[44:45], 2.0, -v[12:13]
	v_add_f64 v[68:69], v[10:11], -v[18:19]
	v_add_f64 v[18:19], v[20:21], -v[28:29]
	v_add_f64 v[12:13], v[26:27], v[12:13]
	v_add_f64 v[70:71], v[32:33], v[22:23]
	v_fma_f64 v[54:55], v[6:7], s[4:5], v[54:55]
	v_add_co_u32 v88, vcc_lo, 0x2000, v64
	v_fma_f64 v[22:23], v[8:9], s[4:5], v[56:57]
	v_fma_f64 v[62:63], v[62:63], 2.0, -v[46:47]
	v_add_co_ci_u32_e32 v89, vcc_lo, 0, v65, vcc_lo
	v_fma_f64 v[28:29], v[42:43], s[0:1], v[60:61]
	v_fma_f64 v[56:57], v[34:35], s[0:1], v[86:87]
	v_fma_f64 v[34:35], v[78:79], 2.0, -v[50:51]
	v_fma_f64 v[6:7], v[50:51], s[8:9], v[52:53]
	v_add_co_u32 v74, vcc_lo, 0x2800, v64
	v_add_f64 v[60:61], v[0:1], -v[16:17]
	v_add_f64 v[8:9], v[2:3], -v[24:25]
	;; [unrolled: 1-line block ×3, first 2 shown]
	v_fma_f64 v[24:25], v[72:73], 2.0, -v[48:49]
	v_add_f64 v[16:17], v[36:37], -v[44:45]
	v_fma_f64 v[72:73], v[80:81], 2.0, -v[52:53]
	v_fma_f64 v[78:79], v[10:11], 2.0, -v[68:69]
	;; [unrolled: 1-line block ×6, first 2 shown]
	v_fma_f64 v[10:11], v[18:19], s[0:1], v[68:69]
	v_fma_f64 v[32:33], v[40:41], 2.0, -v[22:23]
	v_fma_f64 v[38:39], v[22:23], s[10:11], v[54:55]
	v_add_co_ci_u32_e32 v75, vcc_lo, 0, v65, vcc_lo
	v_fma_f64 v[30:31], v[4:5], 2.0, -v[28:29]
	v_fma_f64 v[90:91], v[14:15], 2.0, -v[56:57]
	v_fma_f64 v[4:5], v[48:49], s[8:9], v[46:47]
	v_fma_f64 v[14:15], v[12:13], s[0:1], v[70:71]
	;; [unrolled: 1-line block ×3, first 2 shown]
	v_add_co_u32 v76, vcc_lo, 0x3000, v64
	v_fma_f64 v[102:103], v[0:1], 2.0, -v[60:61]
	v_fma_f64 v[58:59], v[58:59], 2.0, -v[42:43]
	;; [unrolled: 1-line block ×4, first 2 shown]
	v_fma_f64 v[96:97], v[34:35], s[6:7], v[72:73]
	v_fma_f64 v[44:45], v[24:25], s[6:7], v[62:63]
	;; [unrolled: 1-line block ×5, first 2 shown]
	v_add_co_ci_u32_e32 v77, vcc_lo, 0, v65, vcc_lo
	v_fma_f64 v[106:107], v[32:33], s[12:13], v[86:87]
	v_fma_f64 v[6:7], v[12:13], s[4:5], v[10:11]
	v_add_f64 v[10:11], v[42:43], -v[8:9]
	v_add_f64 v[8:9], v[60:61], v[16:17]
	v_add_co_u32 v92, vcc_lo, 0x3800, v64
	v_fma_f64 v[108:109], v[30:31], s[12:13], v[90:91]
	v_fma_f64 v[2:3], v[50:51], s[6:7], v[4:5]
	;; [unrolled: 1-line block ×5, first 2 shown]
	v_add_co_ci_u32_e32 v93, vcc_lo, 0, v65, vcc_lo
	v_add_co_u32 v94, vcc_lo, 0x4000, v64
	v_fma_f64 v[16:17], v[24:25], s[8:9], v[96:97]
	v_add_f64 v[24:25], v[102:103], -v[104:105]
	v_fma_f64 v[22:23], v[26:27], s[4:5], v[98:99]
	v_add_f64 v[26:27], v[58:59], -v[36:37]
	v_fma_f64 v[20:21], v[20:21], s[0:1], v[100:101]
	v_fma_f64 v[18:19], v[34:35], s[12:13], v[44:45]
	v_add_co_ci_u32_e32 v95, vcc_lo, 0, v65, vcc_lo
	v_fma_f64 v[30:31], v[30:31], s[6:7], v[106:107]
	v_fma_f64 v[42:43], v[42:43], 2.0, -v[10:11]
	v_fma_f64 v[40:41], v[60:61], 2.0, -v[8:9]
	;; [unrolled: 1-line block ×3, first 2 shown]
	v_add_co_u32 v110, vcc_lo, 0x4800, v64
	v_fma_f64 v[28:29], v[32:33], s[10:11], v[108:109]
	v_fma_f64 v[36:37], v[70:71], 2.0, -v[4:5]
	v_fma_f64 v[34:35], v[46:47], 2.0, -v[2:3]
	;; [unrolled: 1-line block ×3, first 2 shown]
	v_add_co_ci_u32_e32 v111, vcc_lo, 0, v65, vcc_lo
	v_add_co_u32 v112, vcc_lo, 0x5000, v64
	v_add_co_ci_u32_e32 v113, vcc_lo, 0, v65, vcc_lo
	v_fma_f64 v[44:45], v[56:57], 2.0, -v[12:13]
	v_fma_f64 v[58:59], v[58:59], 2.0, -v[26:27]
	;; [unrolled: 1-line block ×3, first 2 shown]
	v_add_co_u32 v96, vcc_lo, 0x5800, v64
	v_fma_f64 v[46:47], v[54:55], 2.0, -v[14:15]
	v_fma_f64 v[54:55], v[78:79], 2.0, -v[22:23]
	;; [unrolled: 1-line block ×5, first 2 shown]
	v_add_co_ci_u32_e32 v97, vcc_lo, 0, v65, vcc_lo
	v_add_co_u32 v98, vcc_lo, 0x6000, v64
	v_fma_f64 v[62:63], v[86:87], 2.0, -v[30:31]
	v_fma_f64 v[60:61], v[90:91], 2.0, -v[28:29]
	v_add_co_ci_u32_e32 v99, vcc_lo, 0, v65, vcc_lo
	v_add_co_u32 v68, vcc_lo, 0x6800, v64
	v_add_co_ci_u32_e32 v69, vcc_lo, 0, v65, vcc_lo
	v_add_co_u32 v70, vcc_lo, 0x7000, v64
	v_add_co_ci_u32_e32 v71, vcc_lo, 0, v65, vcc_lo
	global_store_dwordx4 v[96:97], v[8:11], off offset:1472
	global_store_dwordx4 v[68:69], v[4:7], off offset:1376
	;; [unrolled: 1-line block ×9, first 2 shown]
	global_store_dwordx4 v[64:65], v[56:59], off
	global_store_dwordx4 v[66:67], v[52:55], off offset:1952
	global_store_dwordx4 v[82:83], v[48:51], off offset:1904
	;; [unrolled: 1-line block ×6, first 2 shown]
.LBB0_35:
	s_endpgm
	.section	.rodata,"a",@progbits
	.p2align	6, 0x0
	.amdhsa_kernel fft_rtc_back_len2000_factors_5_5_5_16_wgs_125_tpt_125_halfLds_dp_ip_CI_unitstride_sbrr_dirReg
		.amdhsa_group_segment_fixed_size 0
		.amdhsa_private_segment_fixed_size 0
		.amdhsa_kernarg_size 88
		.amdhsa_user_sgpr_count 6
		.amdhsa_user_sgpr_private_segment_buffer 1
		.amdhsa_user_sgpr_dispatch_ptr 0
		.amdhsa_user_sgpr_queue_ptr 0
		.amdhsa_user_sgpr_kernarg_segment_ptr 1
		.amdhsa_user_sgpr_dispatch_id 0
		.amdhsa_user_sgpr_flat_scratch_init 0
		.amdhsa_user_sgpr_private_segment_size 0
		.amdhsa_wavefront_size32 1
		.amdhsa_uses_dynamic_stack 0
		.amdhsa_system_sgpr_private_segment_wavefront_offset 0
		.amdhsa_system_sgpr_workgroup_id_x 1
		.amdhsa_system_sgpr_workgroup_id_y 0
		.amdhsa_system_sgpr_workgroup_id_z 0
		.amdhsa_system_sgpr_workgroup_info 0
		.amdhsa_system_vgpr_workitem_id 0
		.amdhsa_next_free_vgpr 188
		.amdhsa_next_free_sgpr 21
		.amdhsa_reserve_vcc 1
		.amdhsa_reserve_flat_scratch 0
		.amdhsa_float_round_mode_32 0
		.amdhsa_float_round_mode_16_64 0
		.amdhsa_float_denorm_mode_32 3
		.amdhsa_float_denorm_mode_16_64 3
		.amdhsa_dx10_clamp 1
		.amdhsa_ieee_mode 1
		.amdhsa_fp16_overflow 0
		.amdhsa_workgroup_processor_mode 1
		.amdhsa_memory_ordered 1
		.amdhsa_forward_progress 0
		.amdhsa_shared_vgpr_count 0
		.amdhsa_exception_fp_ieee_invalid_op 0
		.amdhsa_exception_fp_denorm_src 0
		.amdhsa_exception_fp_ieee_div_zero 0
		.amdhsa_exception_fp_ieee_overflow 0
		.amdhsa_exception_fp_ieee_underflow 0
		.amdhsa_exception_fp_ieee_inexact 0
		.amdhsa_exception_int_div_zero 0
	.end_amdhsa_kernel
	.text
.Lfunc_end0:
	.size	fft_rtc_back_len2000_factors_5_5_5_16_wgs_125_tpt_125_halfLds_dp_ip_CI_unitstride_sbrr_dirReg, .Lfunc_end0-fft_rtc_back_len2000_factors_5_5_5_16_wgs_125_tpt_125_halfLds_dp_ip_CI_unitstride_sbrr_dirReg
                                        ; -- End function
	.section	.AMDGPU.csdata,"",@progbits
; Kernel info:
; codeLenInByte = 13716
; NumSgprs: 23
; NumVgprs: 188
; ScratchSize: 0
; MemoryBound: 1
; FloatMode: 240
; IeeeMode: 1
; LDSByteSize: 0 bytes/workgroup (compile time only)
; SGPRBlocks: 2
; VGPRBlocks: 23
; NumSGPRsForWavesPerEU: 23
; NumVGPRsForWavesPerEU: 188
; Occupancy: 5
; WaveLimiterHint : 1
; COMPUTE_PGM_RSRC2:SCRATCH_EN: 0
; COMPUTE_PGM_RSRC2:USER_SGPR: 6
; COMPUTE_PGM_RSRC2:TRAP_HANDLER: 0
; COMPUTE_PGM_RSRC2:TGID_X_EN: 1
; COMPUTE_PGM_RSRC2:TGID_Y_EN: 0
; COMPUTE_PGM_RSRC2:TGID_Z_EN: 0
; COMPUTE_PGM_RSRC2:TIDIG_COMP_CNT: 0
	.text
	.p2alignl 6, 3214868480
	.fill 48, 4, 3214868480
	.type	__hip_cuid_46f7584fb2352831,@object ; @__hip_cuid_46f7584fb2352831
	.section	.bss,"aw",@nobits
	.globl	__hip_cuid_46f7584fb2352831
__hip_cuid_46f7584fb2352831:
	.byte	0                               ; 0x0
	.size	__hip_cuid_46f7584fb2352831, 1

	.ident	"AMD clang version 19.0.0git (https://github.com/RadeonOpenCompute/llvm-project roc-6.4.0 25133 c7fe45cf4b819c5991fe208aaa96edf142730f1d)"
	.section	".note.GNU-stack","",@progbits
	.addrsig
	.addrsig_sym __hip_cuid_46f7584fb2352831
	.amdgpu_metadata
---
amdhsa.kernels:
  - .args:
      - .actual_access:  read_only
        .address_space:  global
        .offset:         0
        .size:           8
        .value_kind:     global_buffer
      - .offset:         8
        .size:           8
        .value_kind:     by_value
      - .actual_access:  read_only
        .address_space:  global
        .offset:         16
        .size:           8
        .value_kind:     global_buffer
      - .actual_access:  read_only
        .address_space:  global
        .offset:         24
        .size:           8
        .value_kind:     global_buffer
      - .offset:         32
        .size:           8
        .value_kind:     by_value
      - .actual_access:  read_only
        .address_space:  global
        .offset:         40
        .size:           8
        .value_kind:     global_buffer
      - .actual_access:  read_only
        .address_space:  global
        .offset:         48
        .size:           8
        .value_kind:     global_buffer
      - .offset:         56
        .size:           4
        .value_kind:     by_value
      - .actual_access:  read_only
        .address_space:  global
        .offset:         64
        .size:           8
        .value_kind:     global_buffer
      - .actual_access:  read_only
        .address_space:  global
        .offset:         72
        .size:           8
        .value_kind:     global_buffer
      - .address_space:  global
        .offset:         80
        .size:           8
        .value_kind:     global_buffer
    .group_segment_fixed_size: 0
    .kernarg_segment_align: 8
    .kernarg_segment_size: 88
    .language:       OpenCL C
    .language_version:
      - 2
      - 0
    .max_flat_workgroup_size: 125
    .name:           fft_rtc_back_len2000_factors_5_5_5_16_wgs_125_tpt_125_halfLds_dp_ip_CI_unitstride_sbrr_dirReg
    .private_segment_fixed_size: 0
    .sgpr_count:     23
    .sgpr_spill_count: 0
    .symbol:         fft_rtc_back_len2000_factors_5_5_5_16_wgs_125_tpt_125_halfLds_dp_ip_CI_unitstride_sbrr_dirReg.kd
    .uniform_work_group_size: 1
    .uses_dynamic_stack: false
    .vgpr_count:     188
    .vgpr_spill_count: 0
    .wavefront_size: 32
    .workgroup_processor_mode: 1
amdhsa.target:   amdgcn-amd-amdhsa--gfx1030
amdhsa.version:
  - 1
  - 2
...

	.end_amdgpu_metadata
